;; amdgpu-corpus repo=ROCm/rocFFT kind=compiled arch=gfx1030 opt=O3
	.text
	.amdgcn_target "amdgcn-amd-amdhsa--gfx1030"
	.amdhsa_code_object_version 6
	.protected	fft_rtc_back_len3600_factors_10_10_6_6_wgs_120_tpt_120_halfLds_sp_op_CI_CI_unitstride_sbrr_dirReg ; -- Begin function fft_rtc_back_len3600_factors_10_10_6_6_wgs_120_tpt_120_halfLds_sp_op_CI_CI_unitstride_sbrr_dirReg
	.globl	fft_rtc_back_len3600_factors_10_10_6_6_wgs_120_tpt_120_halfLds_sp_op_CI_CI_unitstride_sbrr_dirReg
	.p2align	8
	.type	fft_rtc_back_len3600_factors_10_10_6_6_wgs_120_tpt_120_halfLds_sp_op_CI_CI_unitstride_sbrr_dirReg,@function
fft_rtc_back_len3600_factors_10_10_6_6_wgs_120_tpt_120_halfLds_sp_op_CI_CI_unitstride_sbrr_dirReg: ; @fft_rtc_back_len3600_factors_10_10_6_6_wgs_120_tpt_120_halfLds_sp_op_CI_CI_unitstride_sbrr_dirReg
; %bb.0:
	s_clause 0x2
	s_load_dwordx4 s[12:15], s[4:5], 0x0
	s_load_dwordx4 s[8:11], s[4:5], 0x58
	;; [unrolled: 1-line block ×3, first 2 shown]
	v_mul_u32_u24_e32 v1, 0x223, v0
	v_mov_b32_e32 v5, 0
	v_mov_b32_e32 v63, 0
	;; [unrolled: 1-line block ×3, first 2 shown]
	v_add_nc_u32_sdwa v7, s6, v1 dst_sel:DWORD dst_unused:UNUSED_PAD src0_sel:DWORD src1_sel:WORD_1
	v_mov_b32_e32 v8, v5
	s_waitcnt lgkmcnt(0)
	v_cmp_lt_u64_e64 s0, s[14:15], 2
	s_and_b32 vcc_lo, exec_lo, s0
	s_cbranch_vccnz .LBB0_8
; %bb.1:
	s_load_dwordx2 s[0:1], s[4:5], 0x10
	v_mov_b32_e32 v63, 0
	v_mov_b32_e32 v64, 0
	s_add_u32 s2, s18, 8
	s_addc_u32 s3, s19, 0
	v_mov_b32_e32 v1, v63
	s_add_u32 s6, s16, 8
	v_mov_b32_e32 v2, v64
	s_addc_u32 s7, s17, 0
	s_mov_b64 s[22:23], 1
	s_waitcnt lgkmcnt(0)
	s_add_u32 s20, s0, 8
	s_addc_u32 s21, s1, 0
.LBB0_2:                                ; =>This Inner Loop Header: Depth=1
	s_load_dwordx2 s[24:25], s[20:21], 0x0
                                        ; implicit-def: $vgpr3_vgpr4
	s_mov_b32 s0, exec_lo
	s_waitcnt lgkmcnt(0)
	v_or_b32_e32 v6, s25, v8
	v_cmpx_ne_u64_e32 0, v[5:6]
	s_xor_b32 s1, exec_lo, s0
	s_cbranch_execz .LBB0_4
; %bb.3:                                ;   in Loop: Header=BB0_2 Depth=1
	v_cvt_f32_u32_e32 v3, s24
	v_cvt_f32_u32_e32 v4, s25
	s_sub_u32 s0, 0, s24
	s_subb_u32 s26, 0, s25
	v_fmac_f32_e32 v3, 0x4f800000, v4
	v_rcp_f32_e32 v3, v3
	v_mul_f32_e32 v3, 0x5f7ffffc, v3
	v_mul_f32_e32 v4, 0x2f800000, v3
	v_trunc_f32_e32 v4, v4
	v_fmac_f32_e32 v3, 0xcf800000, v4
	v_cvt_u32_f32_e32 v4, v4
	v_cvt_u32_f32_e32 v3, v3
	v_mul_lo_u32 v6, s0, v4
	v_mul_hi_u32 v9, s0, v3
	v_mul_lo_u32 v10, s26, v3
	v_add_nc_u32_e32 v6, v9, v6
	v_mul_lo_u32 v9, s0, v3
	v_add_nc_u32_e32 v6, v6, v10
	v_mul_hi_u32 v10, v3, v9
	v_mul_lo_u32 v11, v3, v6
	v_mul_hi_u32 v12, v3, v6
	v_mul_hi_u32 v13, v4, v9
	v_mul_lo_u32 v9, v4, v9
	v_mul_hi_u32 v14, v4, v6
	v_mul_lo_u32 v6, v4, v6
	v_add_co_u32 v10, vcc_lo, v10, v11
	v_add_co_ci_u32_e32 v11, vcc_lo, 0, v12, vcc_lo
	v_add_co_u32 v9, vcc_lo, v10, v9
	v_add_co_ci_u32_e32 v9, vcc_lo, v11, v13, vcc_lo
	v_add_co_ci_u32_e32 v10, vcc_lo, 0, v14, vcc_lo
	v_add_co_u32 v6, vcc_lo, v9, v6
	v_add_co_ci_u32_e32 v9, vcc_lo, 0, v10, vcc_lo
	v_add_co_u32 v3, vcc_lo, v3, v6
	v_add_co_ci_u32_e32 v4, vcc_lo, v4, v9, vcc_lo
	v_mul_hi_u32 v6, s0, v3
	v_mul_lo_u32 v10, s26, v3
	v_mul_lo_u32 v9, s0, v4
	v_add_nc_u32_e32 v6, v6, v9
	v_mul_lo_u32 v9, s0, v3
	v_add_nc_u32_e32 v6, v6, v10
	v_mul_hi_u32 v10, v3, v9
	v_mul_lo_u32 v11, v3, v6
	v_mul_hi_u32 v12, v3, v6
	v_mul_hi_u32 v13, v4, v9
	v_mul_lo_u32 v9, v4, v9
	v_mul_hi_u32 v14, v4, v6
	v_mul_lo_u32 v6, v4, v6
	v_add_co_u32 v10, vcc_lo, v10, v11
	v_add_co_ci_u32_e32 v11, vcc_lo, 0, v12, vcc_lo
	v_add_co_u32 v9, vcc_lo, v10, v9
	v_add_co_ci_u32_e32 v9, vcc_lo, v11, v13, vcc_lo
	v_add_co_ci_u32_e32 v10, vcc_lo, 0, v14, vcc_lo
	v_add_co_u32 v6, vcc_lo, v9, v6
	v_add_co_ci_u32_e32 v9, vcc_lo, 0, v10, vcc_lo
	v_add_co_u32 v6, vcc_lo, v3, v6
	v_add_co_ci_u32_e32 v11, vcc_lo, v4, v9, vcc_lo
	v_mul_hi_u32 v13, v7, v6
	v_mad_u64_u32 v[9:10], null, v8, v6, 0
	v_mad_u64_u32 v[3:4], null, v7, v11, 0
	;; [unrolled: 1-line block ×3, first 2 shown]
	v_add_co_u32 v3, vcc_lo, v13, v3
	v_add_co_ci_u32_e32 v4, vcc_lo, 0, v4, vcc_lo
	v_add_co_u32 v3, vcc_lo, v3, v9
	v_add_co_ci_u32_e32 v3, vcc_lo, v4, v10, vcc_lo
	v_add_co_ci_u32_e32 v4, vcc_lo, 0, v12, vcc_lo
	v_add_co_u32 v6, vcc_lo, v3, v11
	v_add_co_ci_u32_e32 v9, vcc_lo, 0, v4, vcc_lo
	v_mul_lo_u32 v10, s25, v6
	v_mad_u64_u32 v[3:4], null, s24, v6, 0
	v_mul_lo_u32 v11, s24, v9
	v_sub_co_u32 v3, vcc_lo, v7, v3
	v_add3_u32 v4, v4, v11, v10
	v_sub_nc_u32_e32 v10, v8, v4
	v_subrev_co_ci_u32_e64 v10, s0, s25, v10, vcc_lo
	v_add_co_u32 v11, s0, v6, 2
	v_add_co_ci_u32_e64 v12, s0, 0, v9, s0
	v_sub_co_u32 v13, s0, v3, s24
	v_sub_co_ci_u32_e32 v4, vcc_lo, v8, v4, vcc_lo
	v_subrev_co_ci_u32_e64 v10, s0, 0, v10, s0
	v_cmp_le_u32_e32 vcc_lo, s24, v13
	v_cmp_eq_u32_e64 s0, s25, v4
	v_cndmask_b32_e64 v13, 0, -1, vcc_lo
	v_cmp_le_u32_e32 vcc_lo, s25, v10
	v_cndmask_b32_e64 v14, 0, -1, vcc_lo
	v_cmp_le_u32_e32 vcc_lo, s24, v3
	;; [unrolled: 2-line block ×3, first 2 shown]
	v_cndmask_b32_e64 v15, 0, -1, vcc_lo
	v_cmp_eq_u32_e32 vcc_lo, s25, v10
	v_cndmask_b32_e64 v3, v15, v3, s0
	v_cndmask_b32_e32 v10, v14, v13, vcc_lo
	v_add_co_u32 v13, vcc_lo, v6, 1
	v_add_co_ci_u32_e32 v14, vcc_lo, 0, v9, vcc_lo
	v_cmp_ne_u32_e32 vcc_lo, 0, v10
	v_cndmask_b32_e32 v4, v14, v12, vcc_lo
	v_cndmask_b32_e32 v10, v13, v11, vcc_lo
	v_cmp_ne_u32_e32 vcc_lo, 0, v3
	v_cndmask_b32_e32 v4, v9, v4, vcc_lo
	v_cndmask_b32_e32 v3, v6, v10, vcc_lo
.LBB0_4:                                ;   in Loop: Header=BB0_2 Depth=1
	s_andn2_saveexec_b32 s0, s1
	s_cbranch_execz .LBB0_6
; %bb.5:                                ;   in Loop: Header=BB0_2 Depth=1
	v_cvt_f32_u32_e32 v3, s24
	s_sub_i32 s1, 0, s24
	v_rcp_iflag_f32_e32 v3, v3
	v_mul_f32_e32 v3, 0x4f7ffffe, v3
	v_cvt_u32_f32_e32 v3, v3
	v_mul_lo_u32 v4, s1, v3
	v_mul_hi_u32 v4, v3, v4
	v_add_nc_u32_e32 v3, v3, v4
	v_mul_hi_u32 v3, v7, v3
	v_mul_lo_u32 v4, v3, s24
	v_add_nc_u32_e32 v6, 1, v3
	v_sub_nc_u32_e32 v4, v7, v4
	v_subrev_nc_u32_e32 v9, s24, v4
	v_cmp_le_u32_e32 vcc_lo, s24, v4
	v_cndmask_b32_e32 v4, v4, v9, vcc_lo
	v_cndmask_b32_e32 v3, v3, v6, vcc_lo
	v_cmp_le_u32_e32 vcc_lo, s24, v4
	v_add_nc_u32_e32 v6, 1, v3
	v_mov_b32_e32 v4, v5
	v_cndmask_b32_e32 v3, v3, v6, vcc_lo
.LBB0_6:                                ;   in Loop: Header=BB0_2 Depth=1
	s_or_b32 exec_lo, exec_lo, s0
	v_mul_lo_u32 v6, v4, s24
	v_mul_lo_u32 v11, v3, s25
	s_load_dwordx2 s[0:1], s[6:7], 0x0
	v_mad_u64_u32 v[9:10], null, v3, s24, 0
	s_load_dwordx2 s[24:25], s[2:3], 0x0
	s_add_u32 s22, s22, 1
	s_addc_u32 s23, s23, 0
	s_add_u32 s2, s2, 8
	s_addc_u32 s3, s3, 0
	s_add_u32 s6, s6, 8
	v_add3_u32 v6, v10, v11, v6
	v_sub_co_u32 v7, vcc_lo, v7, v9
	s_addc_u32 s7, s7, 0
	s_add_u32 s20, s20, 8
	v_sub_co_ci_u32_e32 v6, vcc_lo, v8, v6, vcc_lo
	s_addc_u32 s21, s21, 0
	s_waitcnt lgkmcnt(0)
	v_mul_lo_u32 v8, s0, v6
	v_mul_lo_u32 v9, s1, v7
	v_mad_u64_u32 v[63:64], null, s0, v7, v[63:64]
	v_mul_lo_u32 v6, s24, v6
	v_mul_lo_u32 v10, s25, v7
	v_mad_u64_u32 v[1:2], null, s24, v7, v[1:2]
	v_cmp_ge_u64_e64 s0, s[22:23], s[14:15]
	v_add3_u32 v64, v9, v64, v8
	v_add3_u32 v2, v10, v2, v6
	s_and_b32 vcc_lo, exec_lo, s0
	s_cbranch_vccnz .LBB0_9
; %bb.7:                                ;   in Loop: Header=BB0_2 Depth=1
	v_mov_b32_e32 v8, v4
	v_mov_b32_e32 v7, v3
	s_branch .LBB0_2
.LBB0_8:
	v_mov_b32_e32 v1, v63
	v_mov_b32_e32 v3, v7
	;; [unrolled: 1-line block ×4, first 2 shown]
.LBB0_9:
	s_load_dwordx2 s[0:1], s[4:5], 0x28
	v_mul_hi_u32 v5, 0x2222223, v0
	s_lshl_b64 s[4:5], s[14:15], 3
                                        ; implicit-def: $vgpr73
	s_add_u32 s2, s18, s4
	s_addc_u32 s3, s19, s5
	s_waitcnt lgkmcnt(0)
	v_cmp_gt_u64_e32 vcc_lo, s[0:1], v[3:4]
	v_cmp_le_u64_e64 s0, s[0:1], v[3:4]
	s_and_saveexec_b32 s1, s0
	s_xor_b32 s0, exec_lo, s1
; %bb.10:
	v_mul_u32_u24_e32 v5, 0x78, v5
                                        ; implicit-def: $vgpr63_vgpr64
	v_sub_nc_u32_e32 v73, v0, v5
                                        ; implicit-def: $vgpr5
                                        ; implicit-def: $vgpr0
; %bb.11:
	s_or_saveexec_b32 s1, s0
                                        ; implicit-def: $vgpr24
                                        ; implicit-def: $vgpr22
                                        ; implicit-def: $vgpr18
                                        ; implicit-def: $vgpr16
                                        ; implicit-def: $vgpr32
                                        ; implicit-def: $vgpr20
                                        ; implicit-def: $vgpr60
                                        ; implicit-def: $vgpr12
                                        ; implicit-def: $vgpr10
                                        ; implicit-def: $vgpr6
                                        ; implicit-def: $vgpr36
                                        ; implicit-def: $vgpr38
                                        ; implicit-def: $vgpr40
                                        ; implicit-def: $vgpr34
                                        ; implicit-def: $vgpr44
                                        ; implicit-def: $vgpr30
                                        ; implicit-def: $vgpr62
                                        ; implicit-def: $vgpr42
                                        ; implicit-def: $vgpr14
                                        ; implicit-def: $vgpr8
                                        ; implicit-def: $vgpr50
                                        ; implicit-def: $vgpr56
                                        ; implicit-def: $vgpr58
                                        ; implicit-def: $vgpr54
                                        ; implicit-def: $vgpr52
                                        ; implicit-def: $vgpr48
                                        ; implicit-def: $vgpr65
                                        ; implicit-def: $vgpr46
                                        ; implicit-def: $vgpr28
                                        ; implicit-def: $vgpr26
	s_xor_b32 exec_lo, exec_lo, s1
	s_cbranch_execz .LBB0_13
; %bb.12:
	s_add_u32 s4, s16, s4
	s_addc_u32 s5, s17, s5
	s_load_dwordx2 s[4:5], s[4:5], 0x0
	s_waitcnt lgkmcnt(0)
	v_mul_lo_u32 v8, s5, v3
	v_mul_lo_u32 v9, s4, v4
	v_mad_u64_u32 v[6:7], null, s4, v3, 0
	v_add3_u32 v7, v7, v9, v8
	v_mul_u32_u24_e32 v9, 0x78, v5
	v_lshlrev_b64 v[5:6], 3, v[6:7]
	v_lshlrev_b64 v[7:8], 3, v[63:64]
	v_sub_nc_u32_e32 v73, v0, v9
	v_add_co_u32 v0, s0, s8, v5
	v_add_co_ci_u32_e64 v5, s0, s9, v6, s0
	v_lshlrev_b32_e32 v19, 3, v73
	v_add_co_u32 v0, s0, v0, v7
	v_add_co_ci_u32_e64 v27, s0, v5, v8, s0
	v_or_b32_e32 v28, 0x3c00, v19
	v_add_co_u32 v5, s0, v0, v19
	v_add_co_ci_u32_e64 v6, s0, 0, v27, s0
	v_add_co_u32 v9, s0, 0x800, v5
	v_add_co_ci_u32_e64 v10, s0, 0, v6, s0
	;; [unrolled: 2-line block ×14, first 2 shown]
	v_add_co_u32 v68, s0, 0x6800, v5
	s_clause 0x3
	global_load_dwordx2 v[25:26], v[5:6], off
	global_load_dwordx2 v[7:8], v[5:6], off offset:960
	global_load_dwordx2 v[13:14], v[9:10], off offset:1792
	;; [unrolled: 1-line block ×3, first 2 shown]
	v_add_co_ci_u32_e64 v69, s0, 0, v6, s0
	s_clause 0x19
	global_load_dwordx2 v[27:28], v[9:10], off offset:832
	global_load_dwordx2 v[5:6], v[5:6], off offset:1920
	;; [unrolled: 1-line block ×12, first 2 shown]
	global_load_dwordx2 v[43:44], v[31:32], off
	global_load_dwordx2 v[19:20], v[19:20], off offset:1152
	global_load_dwordx2 v[15:16], v[35:36], off offset:768
	global_load_dwordx2 v[33:34], v[23:24], off offset:1856
	global_load_dwordx2 v[53:54], v[23:24], off offset:896
	global_load_dwordx2 v[31:32], v[21:22], off offset:1984
	global_load_dwordx2 v[41:42], v[41:42], off offset:576
	global_load_dwordx2 v[49:50], v[66:67], off offset:1344
	global_load_dwordx2 v[57:58], v[35:36], off offset:1728
	global_load_dwordx2 v[55:56], v[37:38], off offset:512
	global_load_dwordx2 v[37:38], v[37:38], off offset:1472
	global_load_dwordx2 v[21:22], v[66:67], off offset:384
	global_load_dwordx2 v[35:36], v[68:69], off offset:256
	global_load_dwordx2 v[23:24], v[68:69], off offset:1216
.LBB0_13:
	s_or_b32 exec_lo, exec_lo, s1
	s_waitcnt vmcnt(9)
	v_add_f32_e32 v0, v53, v47
	s_waitcnt vmcnt(4)
	v_add_f32_e32 v63, v55, v45
	v_add_f32_e32 v66, v45, v25
	v_sub_f32_e32 v67, v53, v55
	v_add_f32_e32 v75, v49, v64
	v_fma_f32 v0, -0.5, v0, v25
	v_fmac_f32_e32 v25, -0.5, v63
	v_sub_f32_e32 v63, v47, v45
	v_sub_f32_e32 v69, v48, v54
	v_add_f32_e32 v79, v64, v27
	v_sub_f32_e32 v70, v46, v56
	v_sub_f32_e32 v71, v45, v47
	v_add_f32_e32 v63, v67, v63
	v_add_f32_e32 v67, v57, v51
	v_fmamk_f32 v68, v69, 0x3f737871, v25
	v_sub_f32_e32 v72, v55, v53
	v_fmac_f32_e32 v25, 0xbf737871, v69
	v_sub_f32_e32 v78, v51, v64
	v_fma_f32 v74, -0.5, v67, v27
	v_fmac_f32_e32 v27, -0.5, v75
	v_sub_f32_e32 v67, v64, v51
	v_sub_f32_e32 v75, v49, v57
	;; [unrolled: 1-line block ×3, first 2 shown]
	v_add_f32_e32 v81, v50, v65
	v_fmac_f32_e32 v68, 0xbf167918, v70
	v_add_f32_e32 v71, v72, v71
	v_add_f32_e32 v77, v75, v67
	;; [unrolled: 1-line block ×3, first 2 shown]
	v_fmac_f32_e32 v25, 0x3f167918, v70
	v_sub_f32_e32 v72, v52, v58
	v_sub_f32_e32 v76, v65, v50
	v_add_f32_e32 v78, v80, v78
	v_fma_f32 v75, -0.5, v67, v28
	v_add_f32_e32 v67, v65, v28
	v_fmac_f32_e32 v28, -0.5, v81
	v_sub_f32_e32 v82, v51, v57
	v_sub_f32_e32 v80, v65, v52
	;; [unrolled: 1-line block ×5, first 2 shown]
	v_fmac_f32_e32 v68, 0x3e9e377a, v63
	v_fmac_f32_e32 v25, 0x3e9e377a, v63
	v_fmamk_f32 v63, v72, 0x3f737871, v27
	v_fmac_f32_e32 v27, 0xbf737871, v72
	v_fmamk_f32 v64, v82, 0xbf737871, v28
	v_fmac_f32_e32 v28, 0x3f737871, v82
	v_sub_f32_e32 v84, v50, v58
	v_add_f32_e32 v83, v83, v65
	v_fmamk_f32 v65, v81, 0x3f737871, v75
	v_fmac_f32_e32 v63, 0xbf167918, v76
	v_fmac_f32_e32 v27, 0x3f167918, v76
	;; [unrolled: 1-line block ×4, first 2 shown]
	v_add_f32_e32 v84, v84, v80
	v_add_f32_e32 v80, v47, v66
	v_fmamk_f32 v66, v76, 0xbf737871, v74
	v_fmac_f32_e32 v65, 0x3f167918, v82
	v_fmac_f32_e32 v63, 0x3e9e377a, v78
	;; [unrolled: 1-line block ×5, first 2 shown]
	v_fmamk_f32 v78, v70, 0xbf737871, v0
	v_add_f32_e32 v51, v51, v79
	v_fmac_f32_e32 v66, 0xbf167918, v72
	v_fmac_f32_e32 v65, 0x3e9e377a, v84
	v_add_f32_e32 v79, v53, v80
	v_fmac_f32_e32 v78, 0xbf167918, v69
	v_add_f32_e32 v57, v57, v51
	v_fmac_f32_e32 v66, 0x3e9e377a, v77
	v_mul_f32_e32 v85, 0xbf167918, v65
	v_mul_f32_e32 v86, 0xbf737871, v64
	;; [unrolled: 1-line block ×3, first 2 shown]
	v_fmac_f32_e32 v0, 0x3f737871, v70
	v_add_f32_e32 v83, v55, v79
	v_fmac_f32_e32 v78, 0x3e9e377a, v71
	v_add_f32_e32 v49, v49, v57
	v_fmac_f32_e32 v85, 0x3f4f1bbd, v66
	v_fmac_f32_e32 v86, 0x3e9e377a, v63
	v_fmac_f32_e32 v51, 0xbe9e377a, v27
	v_fmac_f32_e32 v75, 0xbf737871, v81
	v_mul_u32_u24_e32 v57, 10, v73
	v_fmac_f32_e32 v0, 0x3f167918, v69
	v_add_f32_e32 v79, v49, v83
	v_add_f32_e32 v80, v78, v85
	;; [unrolled: 1-line block ×3, first 2 shown]
	v_fmac_f32_e32 v74, 0x3f737871, v76
	v_fmac_f32_e32 v75, 0xbf167918, v82
	v_add_f32_e32 v82, v25, v51
	v_lshl_add_u32 v76, v57, 2, 0
	v_fmac_f32_e32 v0, 0x3e9e377a, v71
	v_add_f32_e32 v69, v33, v29
	s_waitcnt vmcnt(3)
	v_add_f32_e32 v71, v37, v41
	v_fmac_f32_e32 v74, 0x3f167918, v72
	ds_write2_b64 v76, v[79:80], v[81:82] offset1:1
	v_sub_f32_e32 v70, v83, v49
	v_add_f32_e32 v49, v41, v7
	v_fma_f32 v82, -0.5, v69, v7
	v_fmac_f32_e32 v7, -0.5, v71
	v_sub_f32_e32 v80, v30, v34
	v_fmac_f32_e32 v74, 0x3e9e377a, v77
	v_sub_f32_e32 v71, v78, v85
	v_sub_f32_e32 v72, v29, v41
	;; [unrolled: 1-line block ×3, first 2 shown]
	v_fmamk_f32 v81, v80, 0x3f737871, v7
	v_sub_f32_e32 v83, v42, v38
	v_sub_f32_e32 v78, v41, v29
	;; [unrolled: 1-line block ×3, first 2 shown]
	v_fmac_f32_e32 v7, 0xbf737871, v80
	v_add_f32_e32 v77, v77, v72
	v_fmac_f32_e32 v81, 0xbf167918, v83
	v_sub_f32_e32 v72, v68, v86
	v_add_f32_e32 v68, v79, v78
	v_fmac_f32_e32 v7, 0x3f167918, v83
	v_add_f32_e32 v78, v39, v43
	s_waitcnt vmcnt(1)
	v_add_f32_e32 v79, v35, v61
	v_fmac_f32_e32 v81, 0x3e9e377a, v77
	v_add_f32_e32 v87, v40, v44
	v_fmac_f32_e32 v7, 0x3e9e377a, v77
	v_fma_f32 v88, -0.5, v78, v13
	v_add_f32_e32 v78, v61, v13
	v_fmac_f32_e32 v13, -0.5, v79
	v_sub_f32_e32 v77, v43, v61
	v_sub_f32_e32 v79, v39, v35
	v_fmac_f32_e32 v75, 0x3e9e377a, v84
	v_sub_f32_e32 v84, v61, v43
	v_sub_f32_e32 v85, v35, v39
	v_fma_f32 v96, -0.5, v87, v14
	v_add_f32_e32 v77, v79, v77
	v_add_f32_e32 v79, v36, v62
	;; [unrolled: 1-line block ×3, first 2 shown]
	v_sub_f32_e32 v87, v43, v39
	v_sub_f32_e32 v86, v44, v40
	v_add_f32_e32 v84, v85, v84
	v_fmac_f32_e32 v14, -0.5, v79
	v_sub_f32_e32 v79, v61, v35
	v_sub_f32_e32 v85, v62, v36
	;; [unrolled: 1-line block ×4, first 2 shown]
	v_fmamk_f32 v98, v87, 0xbf737871, v14
	v_fmac_f32_e32 v14, 0x3f737871, v87
	v_sub_f32_e32 v62, v62, v44
	v_sub_f32_e32 v90, v36, v40
	v_fmamk_f32 v99, v79, 0x3f737871, v96
	v_fmamk_f32 v95, v86, 0x3f737871, v13
	v_fmac_f32_e32 v13, 0xbf737871, v86
	v_add_f32_e32 v61, v89, v61
	v_fmac_f32_e32 v98, 0x3f167918, v79
	v_fmac_f32_e32 v14, 0xbf167918, v79
	v_add_f32_e32 v89, v90, v62
	v_add_f32_e32 v49, v29, v49
	v_fmamk_f32 v100, v85, 0xbf737871, v88
	v_fmac_f32_e32 v99, 0x3f167918, v87
	v_fmac_f32_e32 v95, 0xbf167918, v85
	;; [unrolled: 1-line block ×5, first 2 shown]
	v_fmamk_f32 v90, v83, 0xbf737871, v82
	v_add_f32_e32 v43, v43, v78
	v_add_f32_e32 v49, v33, v49
	v_fmac_f32_e32 v100, 0xbf167918, v86
	v_fmac_f32_e32 v99, 0x3e9e377a, v89
	v_mul_f32_e32 v57, 0xbf167918, v75
	v_fmac_f32_e32 v95, 0x3e9e377a, v77
	v_fmac_f32_e32 v13, 0x3e9e377a, v77
	;; [unrolled: 1-line block ×3, first 2 shown]
	v_add_f32_e32 v39, v39, v43
	v_add_f32_e32 v43, v37, v49
	v_fmac_f32_e32 v100, 0x3e9e377a, v84
	v_mul_f32_e32 v49, 0xbf167918, v99
	v_mul_f32_e32 v91, 0xbf737871, v98
	;; [unrolled: 1-line block ×3, first 2 shown]
	v_fmac_f32_e32 v57, 0xbf4f1bbd, v74
	v_add_f32_e32 v35, v35, v39
	v_fmac_f32_e32 v90, 0x3e9e377a, v68
	v_fmac_f32_e32 v49, 0x3f4f1bbd, v100
	;; [unrolled: 1-line block ×4, first 2 shown]
	v_add_f32_e32 v69, v0, v57
	v_add_f32_e32 v61, v35, v43
	v_fmac_f32_e32 v96, 0xbf737871, v79
	v_add_f32_e32 v62, v90, v49
	v_add_f32_e32 v78, v81, v91
	;; [unrolled: 1-line block ×3, first 2 shown]
	v_add_nc_u32_e32 v77, 0x12c0, v76
	ds_write2_b64 v76, v[69:70], v[71:72] offset0:2 offset1:3
	v_add_f32_e32 v69, v21, v11
	v_add_f32_e32 v70, v11, v5
	v_sub_f32_e32 v71, v20, v16
	ds_write2_b64 v77, v[61:62], v[78:79] offset1:1
	v_sub_f32_e32 v61, v90, v49
	v_add_f32_e32 v49, v15, v19
	v_fmac_f32_e32 v82, 0x3f737871, v83
	v_sub_f32_e32 v78, v12, v22
	v_sub_f32_e32 v62, v81, v91
	;; [unrolled: 1-line block ×3, first 2 shown]
	v_fma_f32 v49, -0.5, v49, v5
	v_fmac_f32_e32 v5, -0.5, v69
	v_sub_f32_e32 v69, v43, v35
	v_sub_f32_e32 v35, v19, v11
	;; [unrolled: 1-line block ×3, first 2 shown]
	v_fmac_f32_e32 v82, 0x3f167918, v80
	v_fmamk_f32 v72, v71, 0x3f737871, v5
	v_fmac_f32_e32 v5, 0xbf737871, v71
	v_sub_f32_e32 v80, v21, v15
	v_add_f32_e32 v35, v43, v35
	v_sub_f32_e32 v81, v59, v31
	v_fmac_f32_e32 v72, 0xbf167918, v78
	v_fmac_f32_e32 v5, 0x3f167918, v78
	s_waitcnt vmcnt(0)
	v_sub_f32_e32 v83, v23, v17
	v_fmac_f32_e32 v88, 0x3f737871, v85
	v_add_f32_e32 v43, v80, v79
	v_add_f32_e32 v79, v17, v31
	v_fmac_f32_e32 v72, 0x3e9e377a, v35
	v_add_f32_e32 v80, v23, v59
	v_fmac_f32_e32 v5, 0x3e9e377a, v35
	v_add_f32_e32 v35, v83, v81
	v_sub_f32_e32 v81, v31, v59
	v_sub_f32_e32 v83, v17, v23
	v_add_f32_e32 v85, v18, v32
	v_fmac_f32_e32 v96, 0xbf167918, v87
	v_fmac_f32_e32 v88, 0x3f167918, v86
	v_fma_f32 v101, -0.5, v79, v9
	v_add_f32_e32 v79, v59, v9
	v_fmac_f32_e32 v9, -0.5, v80
	v_sub_f32_e32 v80, v32, v18
	v_add_f32_e32 v81, v83, v81
	v_add_f32_e32 v83, v24, v60
	v_fma_f32 v103, -0.5, v85, v10
	v_sub_f32_e32 v59, v59, v23
	v_fmac_f32_e32 v96, 0x3e9e377a, v89
	v_fmac_f32_e32 v88, 0x3e9e377a, v84
	v_fmamk_f32 v102, v80, 0x3f737871, v9
	v_sub_f32_e32 v84, v60, v24
	v_fmac_f32_e32 v9, 0xbf737871, v80
	v_add_f32_e32 v104, v60, v10
	v_fmac_f32_e32 v10, -0.5, v83
	v_sub_f32_e32 v83, v31, v17
	v_sub_f32_e32 v85, v32, v60
	;; [unrolled: 1-line block ×4, first 2 shown]
	v_fmamk_f32 v106, v59, 0x3f737871, v103
	v_fmac_f32_e32 v102, 0xbf167918, v84
	v_fmac_f32_e32 v9, 0x3f167918, v84
	v_fmamk_f32 v107, v84, 0xbf737871, v101
	v_add_f32_e32 v60, v89, v60
	v_fmac_f32_e32 v106, 0x3f167918, v83
	v_fmac_f32_e32 v102, 0x3e9e377a, v81
	v_fmac_f32_e32 v9, 0x3e9e377a, v81
	v_add_f32_e32 v70, v19, v70
	v_fmamk_f32 v81, v78, 0xbf737871, v49
	v_add_f32_e32 v31, v31, v79
	v_fmac_f32_e32 v107, 0xbf167918, v80
	v_fmac_f32_e32 v106, 0x3e9e377a, v60
	v_add_f32_e32 v70, v15, v70
	v_fmac_f32_e32 v81, 0xbf167918, v71
	v_add_f32_e32 v17, v17, v31
	v_fmac_f32_e32 v107, 0x3e9e377a, v35
	v_mul_f32_e32 v79, 0xbf167918, v106
	v_fmac_f32_e32 v103, 0xbf737871, v59
	v_fmac_f32_e32 v49, 0x3f737871, v78
	v_sub_f32_e32 v87, v18, v24
	v_fmamk_f32 v105, v83, 0xbf737871, v10
	v_fmac_f32_e32 v10, 0x3f737871, v83
	v_add_f32_e32 v31, v21, v70
	v_fmac_f32_e32 v81, 0x3e9e377a, v43
	v_add_f32_e32 v17, v23, v17
	v_fmac_f32_e32 v79, 0x3f4f1bbd, v107
	v_fmac_f32_e32 v103, 0xbf167918, v83
	v_fmac_f32_e32 v49, 0x3f167918, v71
	v_add_f32_e32 v85, v87, v85
	v_fmac_f32_e32 v105, 0x3f167918, v59
	v_fmac_f32_e32 v10, 0xbf167918, v59
	;; [unrolled: 1-line block ×4, first 2 shown]
	v_add_f32_e32 v59, v17, v31
	v_add_f32_e32 v60, v81, v79
	v_fmac_f32_e32 v49, 0x3e9e377a, v43
	v_sub_f32_e32 v78, v81, v79
	v_sub_f32_e32 v81, v31, v17
	v_add_f32_e32 v17, v52, v67
	v_add_f32_e32 v31, v46, v26
	;; [unrolled: 1-line block ×3, first 2 shown]
	v_sub_f32_e32 v52, v47, v53
	v_sub_f32_e32 v53, v45, v55
	v_add_f32_e32 v45, v56, v46
	v_fmac_f32_e32 v105, 0x3e9e377a, v85
	v_fmac_f32_e32 v10, 0x3e9e377a, v85
	;; [unrolled: 1-line block ×3, first 2 shown]
	v_mul_f32_e32 v39, 0xbf167918, v96
	v_add_f32_e32 v31, v48, v31
	v_fma_f32 v109, -0.5, v43, v26
	v_fmac_f32_e32 v26, -0.5, v45
	v_mul_f32_e32 v23, 0xbf737871, v105
	v_mul_f32_e32 v83, 0xbf737871, v10
	v_fmac_f32_e32 v101, 0x3e9e377a, v35
	v_mul_f32_e32 v35, 0xbf167918, v103
	v_fmac_f32_e32 v82, 0x3e9e377a, v68
	v_fmac_f32_e32 v39, 0xbf4f1bbd, v88
	v_add_f32_e32 v17, v58, v17
	v_sub_f32_e32 v47, v46, v48
	v_sub_f32_e32 v48, v48, v46
	v_add_f32_e32 v31, v54, v31
	v_sub_f32_e32 v55, v56, v54
	v_sub_f32_e32 v54, v54, v56
	v_mul_f32_e32 v110, 0xbe9e377a, v28
	v_fmamk_f32 v111, v52, 0xbf737871, v26
	v_fmac_f32_e32 v26, 0x3f737871, v52
	v_fmamk_f32 v113, v53, 0x3f737871, v109
	v_fmac_f32_e32 v23, 0x3e9e377a, v102
	v_fmac_f32_e32 v83, 0xbe9e377a, v9
	;; [unrolled: 1-line block ×3, first 2 shown]
	v_add_f32_e32 v68, v82, v39
	v_add_nc_u32_e32 v86, 0x12d0, v76
	v_sub_f32_e32 v46, v0, v57
	v_sub_f32_e32 v45, v25, v51
	v_add_f32_e32 v94, v50, v17
	v_fmac_f32_e32 v110, 0x3f737871, v27
	v_add_f32_e32 v0, v54, v48
	v_fmac_f32_e32 v111, 0x3f167918, v53
	v_fmac_f32_e32 v26, 0xbf167918, v53
	v_mul_f32_e32 v112, 0x3f167918, v66
	v_add_f32_e32 v50, v55, v47
	v_fmac_f32_e32 v113, 0x3f167918, v52
	v_sub_f32_e32 v27, v7, v92
	v_mul_f32_e32 v7, 0x3f737871, v63
	v_fmac_f32_e32 v109, 0xbf737871, v53
	v_add_f32_e32 v70, v72, v23
	v_add_f32_e32 v71, v5, v83
	v_add_nc_u32_e32 v108, 0x2580, v76
	v_sub_f32_e32 v79, v72, v23
	v_add_f32_e32 v80, v49, v35
	v_add_nc_u32_e32 v23, 0x2590, v76
	ds_write2_b64 v86, v[68:69], v[61:62] offset1:1
	ds_write2_b64 v108, v[59:60], v[70:71] offset1:1
	;; [unrolled: 1-line block ×3, first 2 shown]
	v_add_f32_e32 v93, v56, v31
	ds_write_b64 v76, v[45:46] offset:32
	v_fmac_f32_e32 v111, 0x3e9e377a, v0
	v_fmac_f32_e32 v26, 0x3e9e377a, v0
	;; [unrolled: 1-line block ×3, first 2 shown]
	v_sub_f32_e32 v45, v5, v83
	v_fmac_f32_e32 v113, 0x3e9e377a, v50
	v_fmac_f32_e32 v7, 0x3e9e377a, v64
	v_mad_i32_i24 v0, 0xffffffdc, v73, v76
	v_fmac_f32_e32 v109, 0xbf167918, v52
	v_mul_f32_e32 v5, 0xbf4f1bbd, v75
	v_sub_f32_e32 v28, v82, v39
	v_sub_f32_e32 v46, v49, v35
	v_add_f32_e32 v89, v94, v93
	v_add_f32_e32 v90, v113, v112
	;; [unrolled: 1-line block ×4, first 2 shown]
	v_add_nc_u32_e32 v25, 0x2400, v0
	v_add_nc_u32_e32 v85, 0x1200, v0
	;; [unrolled: 1-line block ×4, first 2 shown]
	v_fmac_f32_e32 v109, 0x3e9e377a, v50
	v_fmac_f32_e32 v5, 0x3f167918, v74
	v_sub_f32_e32 v75, v111, v7
	v_add_f32_e32 v7, v44, v97
	v_add_f32_e32 v35, v42, v8
	v_add_nc_u32_e32 v39, 0x200, v0
	v_add_nc_u32_e32 v80, 0x2c00, v0
	;; [unrolled: 1-line block ×8, first 2 shown]
	s_load_dwordx2 s[2:3], s[2:3], 0x0
	ds_write_b64 v76, v[27:28] offset:4832
	ds_write_b64 v76, v[45:46] offset:9632
	s_waitcnt lgkmcnt(0)
	s_barrier
	buffer_gl0_inv
	v_add_nc_u32_e32 v81, 0x1a00, v0
	v_add_nc_u32_e32 v83, 0x2000, v0
	ds_read2_b32 v[27:28], v0 offset1:120
	ds_read2_b32 v[45:46], v39 offset0:112 offset1:232
	ds_read2_b32 v[69:70], v17 offset0:80 offset1:200
	;; [unrolled: 1-line block ×14, first 2 shown]
	s_waitcnt lgkmcnt(0)
	s_barrier
	v_sub_f32_e32 v94, v93, v94
	v_add_f32_e32 v93, v109, v5
	buffer_gl0_inv
	ds_write2_b64 v76, v[89:90], v[91:92] offset1:1
	v_sub_f32_e32 v89, v26, v110
	v_sub_f32_e32 v90, v109, v5
	v_add_f32_e32 v5, v40, v7
	v_add_f32_e32 v7, v30, v35
	;; [unrolled: 1-line block ×3, first 2 shown]
	v_sub_f32_e32 v35, v41, v37
	v_add_f32_e32 v37, v38, v42
	v_sub_f32_e32 v29, v29, v33
	v_sub_f32_e32 v33, v42, v30
	v_add_f32_e32 v7, v34, v7
	v_sub_f32_e32 v40, v38, v34
	v_fma_f32 v26, -0.5, v26, v8
	v_fmac_f32_e32 v8, -0.5, v37
	v_sub_f32_e32 v30, v30, v42
	v_mul_f32_e32 v41, 0xbe9e377a, v14
	v_sub_f32_e32 v14, v34, v38
	v_add_f32_e32 v38, v38, v7
	v_fmamk_f32 v34, v35, 0x3f737871, v26
	v_fmac_f32_e32 v26, 0xbf737871, v35
	v_add_f32_e32 v7, v40, v33
	v_fmamk_f32 v33, v29, 0xbf737871, v8
	v_fmac_f32_e32 v8, 0x3f737871, v29
	v_fmac_f32_e32 v41, 0x3f737871, v13
	;; [unrolled: 1-line block ×4, first 2 shown]
	v_add_f32_e32 v13, v14, v30
	v_fmac_f32_e32 v33, 0x3f167918, v35
	v_fmac_f32_e32 v8, 0xbf167918, v35
	v_mul_f32_e32 v29, 0x3f737871, v95
	v_mul_f32_e32 v35, 0x3f167918, v100
	v_fmac_f32_e32 v34, 0x3e9e377a, v7
	v_mul_f32_e32 v40, 0xbf4f1bbd, v96
	v_fmac_f32_e32 v33, 0x3e9e377a, v13
	v_fmac_f32_e32 v29, 0x3e9e377a, v98
	;; [unrolled: 1-line block ×3, first 2 shown]
	v_add_f32_e32 v5, v36, v5
	v_add_f32_e32 v32, v32, v104
	v_fmac_f32_e32 v26, 0x3e9e377a, v7
	v_fmac_f32_e32 v8, 0x3e9e377a, v13
	;; [unrolled: 1-line block ×3, first 2 shown]
	v_add_f32_e32 v13, v33, v29
	v_sub_f32_e32 v30, v33, v29
	v_sub_f32_e32 v29, v34, v35
	v_add_f32_e32 v34, v34, v35
	v_add_f32_e32 v35, v12, v6
	;; [unrolled: 1-line block ×3, first 2 shown]
	v_sub_f32_e32 v7, v8, v41
	v_add_f32_e32 v33, v5, v38
	v_sub_f32_e32 v37, v38, v5
	v_add_f32_e32 v36, v26, v40
	;; [unrolled: 2-line block ×3, first 2 shown]
	v_add_f32_e32 v18, v20, v35
	v_add_f32_e32 v26, v16, v20
	v_sub_f32_e32 v11, v11, v21
	v_sub_f32_e32 v15, v19, v15
	;; [unrolled: 1-line block ×3, first 2 shown]
	v_add_f32_e32 v18, v16, v18
	v_fma_f32 v26, -0.5, v26, v6
	v_sub_f32_e32 v20, v20, v12
	v_add_f32_e32 v12, v22, v12
	v_sub_f32_e32 v21, v22, v16
	v_sub_f32_e32 v16, v16, v22
	v_add_f32_e32 v22, v22, v18
	v_fmamk_f32 v18, v11, 0x3f737871, v26
	v_fmac_f32_e32 v26, 0xbf737871, v11
	v_add_f32_e32 v24, v24, v5
	v_fmac_f32_e32 v6, -0.5, v12
	v_add_f32_e32 v5, v21, v19
	v_fmac_f32_e32 v18, 0x3f167918, v15
	v_fmac_f32_e32 v26, 0xbf167918, v15
	v_mul_f32_e32 v32, 0xbe9e377a, v10
	v_fmamk_f32 v12, v15, 0xbf737871, v6
	v_fmac_f32_e32 v6, 0x3f737871, v15
	v_fmac_f32_e32 v18, 0x3e9e377a, v5
	;; [unrolled: 1-line block ×3, first 2 shown]
	v_and_b32_e32 v5, 0xff, v73
	v_sub_f32_e32 v74, v113, v112
	v_fmac_f32_e32 v32, 0x3f737871, v9
	v_add_f32_e32 v9, v16, v20
	v_fmac_f32_e32 v6, 0xbf167918, v11
	v_mul_lo_u16 v5, 0xcd, v5
	v_add_nc_u16 v35, v73, 0x78
	ds_write2_b64 v76, v[93:94], v[74:75] offset0:2 offset1:3
	v_fmac_f32_e32 v12, 0x3f167918, v11
	v_mul_f32_e32 v15, 0x3f167918, v107
	v_mul_f32_e32 v11, 0x3f737871, v102
	;; [unrolled: 1-line block ×3, first 2 shown]
	v_fmac_f32_e32 v6, 0x3e9e377a, v9
	v_lshrrev_b16 v16, 11, v5
	v_and_b32_e32 v74, 0xff, v35
	v_fmac_f32_e32 v12, 0x3e9e377a, v9
	v_fmac_f32_e32 v15, 0x3f4f1bbd, v106
	;; [unrolled: 1-line block ×4, first 2 shown]
	v_add_f32_e32 v10, v6, v32
	v_sub_f32_e32 v5, v6, v32
	v_mul_lo_u16 v6, v16, 10
	ds_write_b64 v76, v[89:90] offset:32
	ds_write2_b64 v77, v[33:34], v[13:14] offset1:1
	v_mul_lo_u16 v13, 0xcd, v74
	v_add_f32_e32 v9, v12, v11
	v_sub_f32_e32 v12, v12, v11
	v_sub_f32_e32 v11, v18, v15
	v_add_f32_e32 v19, v18, v15
	v_sub_nc_u16 v32, v73, v6
	v_mov_b32_e32 v15, 9
	v_sub_f32_e32 v6, v26, v38
	v_lshrrev_b16 v13, 11, v13
	v_add_f32_e32 v18, v24, v22
	v_sub_f32_e32 v21, v22, v24
	v_add_f32_e32 v20, v26, v38
	v_mul_u32_u24_sdwa v14, v32, v15 dst_sel:DWORD dst_unused:UNUSED_PAD src0_sel:BYTE_0 src1_sel:DWORD
	ds_write2_b64 v86, v[36:37], v[29:30] offset1:1
	ds_write_b64 v76, v[7:8] offset:4832
	ds_write2_b64 v108, v[18:19], v[9:10] offset1:1
	ds_write2_b64 v23, v[20:21], v[11:12] offset1:1
	ds_write_b64 v76, v[5:6] offset:9632
	v_mul_lo_u16 v5, v13, 10
	v_add_nc_u32_e32 v36, 0xf0, v73
	v_lshlrev_b32_e32 v7, 3, v14
	v_mov_b32_e32 v6, 0xcccd
	s_waitcnt lgkmcnt(0)
	v_sub_nc_u16 v23, v35, v5
	s_barrier
	buffer_gl0_inv
	s_clause 0x1
	global_load_dwordx4 v[18:21], v7, s[12:13]
	global_load_dwordx4 v[88:91], v7, s[12:13] offset:16
	v_mul_u32_u24_sdwa v5, v36, v6 dst_sel:DWORD dst_unused:UNUSED_PAD src0_sel:WORD_0 src1_sel:DWORD
	v_mul_u32_u24_sdwa v6, v23, v15 dst_sel:DWORD dst_unused:UNUSED_PAD src0_sel:BYTE_0 src1_sel:DWORD
	v_cmp_gt_u32_e64 s0, 0x64, v73
	v_lshrrev_b32_e32 v11, 19, v5
	v_lshlrev_b32_e32 v5, 3, v6
	v_mul_lo_u16 v6, v11, 10
	s_clause 0x1
	global_load_dwordx4 v[92:95], v5, s[12:13]
	global_load_dwordx4 v[96:99], v5, s[12:13] offset:16
	v_mul_u32_u24_e32 v11, 0x190, v11
	v_sub_nc_u16 v12, v36, v6
	v_mul_u32_u24_sdwa v6, v12, v15 dst_sel:DWORD dst_unused:UNUSED_PAD src0_sel:WORD_0 src1_sel:DWORD
	v_lshlrev_b32_e32 v6, 3, v6
	s_clause 0xa
	global_load_dwordx4 v[100:103], v6, s[12:13]
	global_load_dwordx4 v[104:107], v6, s[12:13] offset:16
	global_load_dwordx4 v[108:111], v7, s[12:13] offset:32
	;; [unrolled: 1-line block ×7, first 2 shown]
	global_load_dwordx2 v[132:133], v7, s[12:13] offset:64
	global_load_dwordx2 v[7:8], v5, s[12:13] offset:64
	;; [unrolled: 1-line block ×3, first 2 shown]
	ds_read2_b32 v[5:6], v39 offset0:112 offset1:232
	ds_read2_b32 v[9:10], v17 offset0:80 offset1:200
	;; [unrolled: 1-line block ×8, first 2 shown]
	s_waitcnt vmcnt(14)
	v_mul_f32_e32 v15, v46, v19
	s_waitcnt lgkmcnt(7)
	v_mul_f32_e32 v75, v6, v19
	v_mul_f32_e32 v17, v69, v21
	s_waitcnt lgkmcnt(6)
	v_mul_f32_e32 v14, v9, v21
	s_waitcnt vmcnt(13) lgkmcnt(5)
	v_mul_f32_e32 v78, v30, v89
	v_fma_f32 v76, v6, v18, -v15
	v_mul_f32_e32 v6, v64, v89
	v_fma_f32 v17, v9, v20, -v17
	v_mul_f32_e32 v9, v65, v91
	v_fmac_f32_e32 v75, v46, v18
	v_fmac_f32_e32 v14, v69, v20
	v_fma_f32 v77, v30, v88, -v6
	v_fmac_f32_e32 v78, v64, v88
	s_waitcnt vmcnt(12)
	v_mul_f32_e32 v6, v70, v95
	v_mul_f32_e32 v20, v10, v95
	s_waitcnt lgkmcnt(4)
	v_fma_f32 v18, v33, v90, -v9
	s_waitcnt vmcnt(11) lgkmcnt(2)
	v_mul_f32_e32 v69, v40, v97
	v_mul_f32_e32 v15, v33, v91
	v_fma_f32 v64, v10, v94, -v6
	ds_read2_b32 v[9:10], v81 offset0:16 offset1:136
	v_mul_f32_e32 v6, v71, v93
	v_mul_f32_e32 v22, v66, v99
	s_waitcnt vmcnt(10)
	v_mul_f32_e32 v26, v63, v103
	v_fmac_f32_e32 v69, v67, v96
	v_fmac_f32_e32 v15, v65, v90
	v_fma_f32 v21, v37, v92, -v6
	v_mul_f32_e32 v6, v67, v97
	v_mul_f32_e32 v19, v37, v93
	v_fma_f32 v65, v34, v98, -v22
	v_mul_f32_e32 v22, v72, v101
	ds_read2_b32 v[89:90], v25 offset0:96 offset1:216
	v_fma_f32 v67, v40, v96, -v6
	v_fma_f32 v6, v29, v102, -v26
	s_waitcnt vmcnt(9)
	v_mul_f32_e32 v26, v59, v107
	v_fmac_f32_e32 v19, v71, v92
	v_mul_f32_e32 v24, v34, v99
	v_mul_f32_e32 v81, v38, v101
	;; [unrolled: 1-line block ×3, first 2 shown]
	v_fma_f32 v88, v38, v100, -v22
	s_waitcnt lgkmcnt(1)
	v_mul_f32_e32 v40, v9, v107
	v_mul_f32_e32 v38, v41, v105
	v_mul_f32_e32 v22, v68, v105
	s_waitcnt vmcnt(8)
	v_mul_f32_e32 v71, v10, v109
	v_fmac_f32_e32 v34, v63, v102
	v_fmac_f32_e32 v40, v59, v106
	v_fma_f32 v59, v9, v106, -v26
	v_mul_f32_e32 v9, v60, v109
	v_mul_f32_e32 v26, v55, v111
	v_fmac_f32_e32 v38, v68, v104
	v_fma_f32 v37, v41, v104, -v22
	v_fmac_f32_e32 v71, v60, v108
	v_fma_f32 v25, v10, v108, -v9
	s_waitcnt vmcnt(7)
	v_mul_f32_e32 v9, v56, v115
	v_mul_f32_e32 v22, v83, v111
	v_fma_f32 v63, v83, v110, -v26
	v_mul_f32_e32 v68, v85, v113
	s_waitcnt vmcnt(6)
	v_mul_f32_e32 v10, v62, v117
	v_fma_f32 v60, v84, v114, -v9
	v_mul_f32_e32 v9, v61, v113
	ds_read2_b32 v[82:83], v82 offset0:80 offset1:200
	v_mul_f32_e32 v30, v84, v115
	v_fmac_f32_e32 v22, v55, v110
	ds_read2_b32 v[91:92], v80 offset0:64 offset1:184
	v_fmac_f32_e32 v68, v61, v112
	v_fma_f32 v61, v85, v112, -v9
	v_fma_f32 v55, v86, v116, -v10
	v_mul_f32_e32 v9, v57, v119
	s_waitcnt vmcnt(5)
	v_mul_f32_e32 v10, v58, v121
	ds_read2_b32 v[84:85], v31 offset0:48 offset1:168
	v_fmac_f32_e32 v30, v56, v114
	v_mul_f32_e32 v41, v86, v117
	s_waitcnt lgkmcnt(3)
	v_fma_f32 v56, v89, v118, -v9
	v_fma_f32 v26, v90, v120, -v10
	ds_read2_b32 v[9:10], v79 offset0:32 offset1:152
	v_mul_f32_e32 v42, v89, v119
	v_fmac_f32_e32 v41, v62, v116
	v_mul_f32_e32 v31, v53, v123
	s_waitcnt vmcnt(4)
	v_mul_f32_e32 v44, v54, v127
	v_fmac_f32_e32 v24, v66, v98
	s_waitcnt lgkmcnt(3)
	v_mul_f32_e32 v62, v82, v125
	v_fmac_f32_e32 v81, v72, v100
	v_mul_f32_e32 v72, v90, v121
	v_fmac_f32_e32 v42, v57, v118
	s_waitcnt lgkmcnt(2)
	v_fma_f32 v66, v91, v122, -v31
	v_mul_f32_e32 v31, v51, v125
	v_fma_f32 v57, v92, v126, -v44
	v_fmac_f32_e32 v62, v51, v124
	s_waitcnt vmcnt(3)
	v_mul_f32_e32 v44, v83, v129
	v_mul_f32_e32 v51, v52, v129
	s_waitcnt lgkmcnt(1)
	v_mul_f32_e32 v46, v84, v131
	v_fmac_f32_e32 v20, v70, v94
	v_fmac_f32_e32 v72, v58, v120
	v_mul_f32_e32 v29, v91, v123
	v_mul_f32_e32 v33, v92, v127
	v_fma_f32 v58, v82, v124, -v31
	v_mul_f32_e32 v31, v47, v131
	v_fmac_f32_e32 v44, v52, v128
	v_fma_f32 v52, v83, v128, -v51
	s_waitcnt vmcnt(2)
	v_mul_f32_e32 v79, v85, v133
	v_fmac_f32_e32 v46, v47, v130
	s_waitcnt vmcnt(1) lgkmcnt(0)
	v_mul_f32_e32 v70, v9, v8
	s_waitcnt vmcnt(0)
	v_mul_f32_e32 v47, v10, v135
	v_mul_f32_e32 v51, v50, v135
	v_fmac_f32_e32 v29, v53, v122
	v_fmac_f32_e32 v33, v54, v126
	v_fma_f32 v53, v84, v130, -v31
	v_mul_f32_e32 v31, v48, v133
	v_fmac_f32_e32 v79, v48, v132
	v_fmac_f32_e32 v70, v49, v7
	v_mul_f32_e32 v48, v49, v8
	v_fmac_f32_e32 v47, v50, v134
	v_fma_f32 v54, v10, v134, -v51
	v_add_f32_e32 v8, v40, v42
	v_add_f32_e32 v49, v34, v46
	v_sub_f32_e32 v50, v40, v34
	v_sub_f32_e32 v51, v42, v46
	v_add_f32_e32 v10, v45, v34
	v_add_f32_e32 v80, v41, v44
	v_fma_f32 v8, -0.5, v8, v45
	v_fmac_f32_e32 v45, -0.5, v49
	v_add_f32_e32 v82, v38, v47
	v_add_f32_e32 v49, v50, v51
	;; [unrolled: 1-line block ×4, first 2 shown]
	v_fma_f32 v80, -0.5, v80, v81
	v_add_f32_e32 v102, v81, v38
	v_fmac_f32_e32 v81, -0.5, v82
	v_fma_f32 v82, -0.5, v50, v88
	v_add_f32_e32 v83, v88, v37
	v_fmac_f32_e32 v88, -0.5, v84
	v_sub_f32_e32 v101, v41, v44
	v_fma_f32 v31, v85, v132, -v31
	v_sub_f32_e32 v50, v55, v37
	v_sub_f32_e32 v85, v52, v54
	;; [unrolled: 1-line block ×3, first 2 shown]
	v_fmamk_f32 v84, v101, 0xbf737871, v88
	v_fmac_f32_e32 v88, 0x3f737871, v101
	v_sub_f32_e32 v104, v38, v47
	v_sub_f32_e32 v51, v41, v38
	v_sub_f32_e32 v86, v44, v47
	v_add_f32_e32 v103, v50, v85
	v_sub_f32_e32 v99, v59, v56
	v_fmamk_f32 v85, v100, 0x3f737871, v81
	v_fmac_f32_e32 v81, 0xbf737871, v100
	v_sub_f32_e32 v105, v37, v54
	v_fmac_f32_e32 v88, 0xbf167918, v104
	v_fmamk_f32 v50, v99, 0x3f737871, v45
	v_fmac_f32_e32 v45, 0xbf737871, v99
	v_sub_f32_e32 v106, v6, v53
	v_add_f32_e32 v107, v51, v86
	v_fmac_f32_e32 v81, 0x3f167918, v105
	v_fmac_f32_e32 v88, 0x3e9e377a, v103
	v_add_f32_e32 v51, v59, v56
	v_fmac_f32_e32 v45, 0x3f167918, v106
	v_fma_f32 v93, v9, v7, -v48
	v_fmac_f32_e32 v81, 0x3e9e377a, v107
	v_mul_f32_e32 v92, 0xbf737871, v88
	v_fma_f32 v86, -0.5, v51, v5
	v_fmac_f32_e32 v45, 0x3e9e377a, v49
	v_sub_f32_e32 v51, v59, v6
	v_sub_f32_e32 v94, v56, v53
	v_fmac_f32_e32 v92, 0xbe9e377a, v81
	v_add_f32_e32 v95, v61, v58
	v_add_f32_e32 v111, v67, v93
	v_mul_f32_e32 v9, 0xbe9e377a, v88
	v_add_f32_e32 v88, v51, v94
	v_add_f32_e32 v7, v45, v92
	v_sub_f32_e32 v45, v45, v92
	v_add_f32_e32 v92, v68, v62
	v_sub_f32_e32 v97, v68, v69
	v_sub_f32_e32 v98, v62, v70
	v_fma_f32 v95, -0.5, v95, v21
	v_add_f32_e32 v96, v21, v67
	v_fma_f32 v94, -0.5, v92, v19
	v_add_f32_e32 v92, v69, v70
	v_sub_f32_e32 v112, v61, v67
	v_sub_f32_e32 v113, v58, v93
	v_fmac_f32_e32 v21, -0.5, v111
	v_sub_f32_e32 v111, v68, v62
	v_add_f32_e32 v87, v6, v53
	v_add_f32_e32 v48, v24, v30
	;; [unrolled: 1-line block ×4, first 2 shown]
	v_fmac_f32_e32 v19, -0.5, v92
	v_add_f32_e32 v114, v97, v98
	v_add_f32_e32 v112, v112, v113
	v_sub_f32_e32 v113, v61, v58
	v_fmamk_f32 v98, v111, 0xbf737871, v21
	v_fmac_f32_e32 v21, 0x3f737871, v111
	v_sub_f32_e32 v115, v69, v70
	v_add_f32_e32 v90, v5, v6
	v_fmac_f32_e32 v5, -0.5, v87
	v_sub_f32_e32 v89, v40, v42
	v_fma_f32 v48, -0.5, v48, v28
	v_add_f32_e32 v108, v28, v20
	v_fmac_f32_e32 v28, -0.5, v51
	v_sub_f32_e32 v116, v65, v60
	v_fmamk_f32 v97, v113, 0x3f737871, v19
	v_fmac_f32_e32 v19, 0xbf737871, v113
	v_sub_f32_e32 v117, v67, v93
	v_fmac_f32_e32 v21, 0xbf167918, v115
	v_fmamk_f32 v87, v89, 0xbf737871, v5
	v_fmac_f32_e32 v5, 0x3f737871, v89
	v_sub_f32_e32 v91, v34, v46
	v_sub_f32_e32 v51, v24, v20
	;; [unrolled: 1-line block ×3, first 2 shown]
	v_fmamk_f32 v118, v116, 0x3f737871, v28
	v_fmac_f32_e32 v28, 0xbf737871, v116
	v_sub_f32_e32 v119, v64, v57
	v_fmac_f32_e32 v19, 0x3f167918, v117
	v_fmac_f32_e32 v21, 0x3e9e377a, v112
	;; [unrolled: 1-line block ×3, first 2 shown]
	v_add_f32_e32 v109, v51, v109
	v_fmac_f32_e32 v28, 0x3f167918, v119
	v_fmac_f32_e32 v19, 0x3e9e377a, v114
	v_mul_f32_e32 v51, 0xbf737871, v21
	v_fmac_f32_e32 v9, 0x3f737871, v81
	v_fmac_f32_e32 v5, 0x3e9e377a, v88
	v_add_f32_e32 v120, v15, v22
	v_fmac_f32_e32 v28, 0x3e9e377a, v109
	v_add_f32_e32 v121, v14, v29
	;; [unrolled: 2-line block ×3, first 2 shown]
	v_sub_f32_e32 v81, v5, v9
	v_fma_f32 v9, -0.5, v120, v27
	v_fma_f32 v120, -0.5, v121, v27
	v_add_f32_e32 v121, v28, v51
	v_sub_f32_e32 v122, v28, v51
	v_add_f32_e32 v5, v27, v14
	v_sub_f32_e32 v27, v14, v15
	v_sub_f32_e32 v28, v29, v22
	;; [unrolled: 1-line block ×6, first 2 shown]
	v_add_f32_e32 v126, v27, v28
	v_add_f32_e32 v28, v71, v72
	v_mov_b32_e32 v127, 0x190
	v_add_f32_e32 v123, v51, v123
	v_add_f32_e32 v27, v25, v26
	v_mov_b32_e32 v51, 2
	v_fma_f32 v129, -0.5, v28, v75
	v_add_f32_e32 v28, v75, v78
	v_add_f32_e32 v5, v5, v15
	v_sub_f32_e32 v136, v18, v63
	v_add_f32_e32 v124, v124, v125
	v_mul_u32_u24_sdwa v16, v16, v127 dst_sel:DWORD dst_unused:UNUSED_PAD src0_sel:WORD_0 src1_sel:DWORD
	v_add_f32_e32 v28, v28, v71
	v_fma_f32 v125, -0.5, v27, v76
	v_sub_f32_e32 v128, v78, v79
	v_lshlrev_b32_sdwa v27, v51, v32 dst_sel:DWORD dst_unused:UNUSED_PAD src0_sel:DWORD src1_sel:BYTE_0
	v_sub_f32_e32 v131, v71, v72
	v_sub_f32_e32 v132, v17, v66
	v_add_f32_e32 v137, v5, v22
	v_add_f32_e32 v28, v28, v72
	v_sub_f32_e32 v139, v15, v14
	v_sub_f32_e32 v140, v22, v29
	v_add_f32_e32 v141, v78, v79
	v_fmamk_f32 v142, v136, 0x3f737871, v120
	v_fmac_f32_e32 v120, 0xbf737871, v136
	v_sub_f32_e32 v71, v71, v78
	v_add_f32_e32 v78, v77, v31
	v_add3_u32 v5, 0, v16, v27
	v_add_f32_e32 v16, v137, v29
	v_add_f32_e32 v137, v28, v79
	;; [unrolled: 1-line block ×3, first 2 shown]
	v_fmac_f32_e32 v142, 0xbf167918, v132
	v_fmac_f32_e32 v120, 0x3f167918, v132
	v_sub_f32_e32 v72, v72, v79
	v_add_f32_e32 v79, v76, v77
	v_fmac_f32_e32 v76, -0.5, v78
	v_sub_f32_e32 v32, v77, v31
	v_fmamk_f32 v130, v128, 0x3f737871, v125
	v_sub_f32_e32 v134, v25, v26
	v_fmac_f32_e32 v75, -0.5, v141
	v_fmac_f32_e32 v142, 0x3e9e377a, v139
	v_fmac_f32_e32 v120, 0x3e9e377a, v139
	v_sub_f32_e32 v77, v25, v77
	v_sub_f32_e32 v78, v26, v31
	v_fmamk_f32 v139, v131, 0xbf737871, v76
	v_fmac_f32_e32 v76, 0x3f737871, v131
	v_fmamk_f32 v133, v32, 0xbf737871, v129
	v_fmac_f32_e32 v130, 0x3f167918, v131
	v_fmac_f32_e32 v125, 0xbf737871, v128
	v_add_f32_e32 v71, v71, v72
	v_fmamk_f32 v72, v134, 0x3f737871, v75
	v_fmac_f32_e32 v75, 0xbf737871, v134
	v_add_f32_e32 v77, v77, v78
	v_fmac_f32_e32 v139, 0x3f167918, v128
	v_fmac_f32_e32 v76, 0xbf167918, v128
	v_fmamk_f32 v135, v132, 0xbf737871, v9
	v_fmac_f32_e32 v133, 0xbf167918, v134
	v_fmac_f32_e32 v130, 0x3e9e377a, v124
	;; [unrolled: 1-line block ×10, first 2 shown]
	v_mul_f32_e32 v138, 0xbf167918, v130
	v_fmac_f32_e32 v9, 0x3f737871, v132
	v_fmac_f32_e32 v129, 0x3f167918, v134
	;; [unrolled: 1-line block ×5, first 2 shown]
	v_mul_f32_e32 v32, 0xbf737871, v139
	v_mul_f32_e32 v71, 0xbf737871, v76
	v_fmac_f32_e32 v135, 0x3e9e377a, v126
	v_fmac_f32_e32 v138, 0x3f4f1bbd, v133
	;; [unrolled: 1-line block ×4, first 2 shown]
	v_mul_f32_e32 v77, 0xbf167918, v125
	v_fmac_f32_e32 v32, 0x3e9e377a, v72
	v_fmac_f32_e32 v71, 0xbe9e377a, v75
	v_add_f32_e32 v143, v16, v137
	v_add_f32_e32 v78, v135, v138
	v_fmac_f32_e32 v9, 0x3e9e377a, v126
	v_fmac_f32_e32 v77, 0xbf4f1bbd, v129
	v_add_f32_e32 v123, v142, v32
	v_add_f32_e32 v124, v120, v71
	ds_read2_b32 v[27:28], v0 offset1:120
	s_waitcnt lgkmcnt(0)
	s_barrier
	buffer_gl0_inv
	ds_write2_b32 v5, v143, v78 offset1:10
	ds_write2_b32 v5, v123, v124 offset0:20 offset1:30
	v_sub_f32_e32 v16, v16, v137
	v_add_f32_e32 v78, v9, v77
	v_sub_f32_e32 v9, v9, v77
	v_add_f32_e32 v77, v110, v68
	v_sub_f32_e32 v123, v135, v138
	v_sub_f32_e32 v32, v142, v32
	;; [unrolled: 1-line block ×3, first 2 shown]
	ds_write2_b32 v5, v78, v16 offset0:40 offset1:50
	ds_write2_b32 v5, v123, v32 offset0:60 offset1:70
	v_add_f32_e32 v16, v77, v62
	v_sub_f32_e32 v32, v69, v68
	v_sub_f32_e32 v62, v70, v62
	v_sub_f32_e32 v67, v67, v61
	v_sub_f32_e32 v68, v93, v58
	v_fmamk_f32 v69, v115, 0x3f737871, v95
	v_fmac_f32_e32 v95, 0xbf737871, v115
	ds_write2_b32 v5, v71, v9 offset0:80 offset1:90
	v_add_f32_e32 v32, v32, v62
	v_add_f32_e32 v62, v108, v24
	v_fmamk_f32 v71, v117, 0xbf737871, v94
	v_add_f32_e32 v67, v67, v68
	v_fmac_f32_e32 v69, 0x3f167918, v111
	v_fmac_f32_e32 v98, 0x3f167918, v115
	;; [unrolled: 1-line block ×4, first 2 shown]
	v_sub_f32_e32 v110, v20, v24
	v_sub_f32_e32 v120, v33, v30
	v_add_f32_e32 v16, v16, v70
	v_mul_u32_u24_sdwa v13, v13, v127 dst_sel:DWORD dst_unused:UNUSED_PAD src0_sel:WORD_0 src1_sel:DWORD
	v_lshlrev_b32_sdwa v23, v51, v23 dst_sel:DWORD dst_unused:UNUSED_PAD src0_sel:DWORD src1_sel:BYTE_0
	v_fmamk_f32 v70, v119, 0xbf737871, v48
	v_add_f32_e32 v62, v62, v30
	v_fmac_f32_e32 v71, 0xbf167918, v113
	v_fmac_f32_e32 v69, 0x3e9e377a, v67
	;; [unrolled: 1-line block ×7, first 2 shown]
	v_add_f32_e32 v9, v110, v120
	v_fmac_f32_e32 v70, 0xbf167918, v116
	v_add3_u32 v68, 0, v13, v23
	v_add_f32_e32 v13, v62, v33
	v_fmac_f32_e32 v71, 0x3e9e377a, v32
	v_mul_f32_e32 v23, 0xbf167918, v69
	v_fmac_f32_e32 v118, 0xbf167918, v119
	v_fmac_f32_e32 v97, 0x3e9e377a, v114
	v_mul_f32_e32 v62, 0xbf737871, v98
	v_fmac_f32_e32 v48, 0x3f167918, v116
	v_fmac_f32_e32 v94, 0x3e9e377a, v32
	v_mul_f32_e32 v32, 0xbf167918, v95
	v_fmac_f32_e32 v70, 0x3e9e377a, v9
	v_fmac_f32_e32 v23, 0x3f4f1bbd, v71
	v_fmac_f32_e32 v118, 0x3e9e377a, v109
	;; [unrolled: 1-line block ×5, first 2 shown]
	v_add_f32_e32 v9, v13, v16
	v_add_f32_e32 v67, v70, v23
	;; [unrolled: 1-line block ×3, first 2 shown]
	v_sub_f32_e32 v23, v70, v23
	v_sub_f32_e32 v62, v118, v62
	;; [unrolled: 1-line block ×3, first 2 shown]
	v_add_f32_e32 v16, v48, v32
	ds_write2_b32 v68, v9, v67 offset1:10
	ds_write2_b32 v68, v77, v121 offset0:20 offset1:30
	ds_write2_b32 v68, v16, v13 offset0:40 offset1:50
	v_add_f32_e32 v9, v10, v40
	ds_write2_b32 v68, v23, v62 offset0:60 offset1:70
	v_sub_f32_e32 v10, v48, v32
	v_sub_f32_e32 v16, v34, v40
	;; [unrolled: 1-line block ×5, first 2 shown]
	ds_write2_b32 v68, v122, v10 offset0:80 offset1:90
	v_fmamk_f32 v70, v104, 0x3f737871, v82
	v_add_f32_e32 v10, v16, v23
	v_sub_f32_e32 v23, v37, v55
	v_add_f32_e32 v16, v32, v34
	v_sub_f32_e32 v32, v54, v52
	v_fmamk_f32 v77, v105, 0xbf737871, v80
	v_fmac_f32_e32 v70, 0x3f167918, v101
	v_fmac_f32_e32 v84, 0x3f167918, v104
	v_add_f32_e32 v13, v102, v41
	v_add_f32_e32 v23, v23, v32
	v_lshlrev_b32_sdwa v12, v51, v12 dst_sel:DWORD dst_unused:UNUSED_PAD src0_sel:DWORD src1_sel:WORD_0
	v_fmamk_f32 v32, v106, 0xbf737871, v8
	v_fmac_f32_e32 v77, 0xbf167918, v100
	v_fmac_f32_e32 v85, 0xbf167918, v105
	;; [unrolled: 1-line block ×4, first 2 shown]
	v_add_f32_e32 v9, v9, v42
	v_add_f32_e32 v13, v13, v44
	v_add3_u32 v78, 0, v11, v12
	v_fmac_f32_e32 v32, 0xbf167918, v99
	v_fmac_f32_e32 v77, 0x3e9e377a, v16
	v_mul_f32_e32 v11, 0xbf167918, v70
	v_fmac_f32_e32 v82, 0xbf737871, v104
	v_fmac_f32_e32 v50, 0xbf167918, v106
	v_fmac_f32_e32 v85, 0x3e9e377a, v107
	v_mul_f32_e32 v12, 0xbf737871, v84
	v_add_f32_e32 v9, v9, v46
	v_add_f32_e32 v13, v13, v47
	v_fmac_f32_e32 v32, 0x3e9e377a, v10
	v_fmac_f32_e32 v11, 0x3f4f1bbd, v77
	;; [unrolled: 1-line block ×7, first 2 shown]
	v_add_f32_e32 v34, v9, v13
	v_add_f32_e32 v37, v32, v11
	v_fmac_f32_e32 v80, 0x3f167918, v100
	v_fmac_f32_e32 v82, 0x3e9e377a, v23
	;; [unrolled: 1-line block ×3, first 2 shown]
	v_add_f32_e32 v38, v50, v12
	ds_write2_b32 v78, v34, v37 offset1:10
	ds_write2_b32 v78, v38, v7 offset0:20 offset1:30
	v_fmac_f32_e32 v80, 0x3e9e377a, v16
	v_mul_f32_e32 v7, 0xbf167918, v82
	v_fmac_f32_e32 v8, 0x3e9e377a, v10
	v_add_f32_e32 v10, v65, v60
	v_sub_f32_e32 v9, v9, v13
	v_add_f32_e32 v13, v64, v57
	v_fmac_f32_e32 v7, 0xbf4f1bbd, v80
	v_sub_f32_e32 v99, v24, v30
	v_fma_f32 v100, -0.5, v10, v28
	v_add_f32_e32 v101, v28, v64
	v_fmac_f32_e32 v28, -0.5, v13
	v_add_f32_e32 v10, v8, v7
	v_sub_f32_e32 v102, v20, v33
	v_sub_f32_e32 v13, v65, v64
	;; [unrolled: 1-line block ×3, first 2 shown]
	v_fmamk_f32 v103, v99, 0xbf737871, v28
	v_fmac_f32_e32 v28, 0x3f737871, v99
	ds_write2_b32 v78, v10, v9 offset0:40 offset1:50
	v_mul_f32_e32 v9, 0xbe9e377a, v21
	v_add_f32_e32 v104, v13, v16
	v_sub_f32_e32 v10, v32, v11
	v_fmac_f32_e32 v28, 0xbf167918, v102
	v_sub_f32_e32 v11, v50, v12
	v_fmac_f32_e32 v9, 0x3f737871, v19
	v_add_f32_e32 v12, v18, v63
	v_add_f32_e32 v13, v17, v66
	v_fmac_f32_e32 v28, 0x3e9e377a, v104
	ds_write2_b32 v78, v10, v11 offset0:60 offset1:70
	v_add_f32_e32 v10, v79, v25
	v_fma_f32 v79, -0.5, v12, v27
	v_sub_f32_e32 v108, v14, v29
	v_add_f32_e32 v106, v28, v9
	v_sub_f32_e32 v107, v28, v9
	v_add_f32_e32 v9, v27, v17
	v_fma_f32 v105, -0.5, v13, v27
	v_sub_f32_e32 v109, v15, v22
	v_sub_f32_e32 v11, v17, v18
	;; [unrolled: 1-line block ×3, first 2 shown]
	v_add_f32_e32 v9, v9, v18
	v_fmamk_f32 v110, v108, 0x3f737871, v79
	v_sub_f32_e32 v115, v18, v17
	v_fmac_f32_e32 v79, 0xbf737871, v108
	v_add_f32_e32 v10, v10, v26
	v_add_f32_e32 v9, v9, v63
	v_sub_f32_e32 v63, v63, v66
	v_add_f32_e32 v111, v11, v12
	v_mul_f32_e32 v112, 0x3f4f1bbd, v130
	v_fmac_f32_e32 v110, 0x3f167918, v109
	v_add_f32_e32 v114, v9, v66
	v_fmamk_f32 v66, v109, 0xbf737871, v105
	v_fmac_f32_e32 v105, 0x3f737871, v109
	v_add_f32_e32 v63, v115, v63
	v_mul_f32_e32 v76, 0xbe9e377a, v76
	v_fmac_f32_e32 v79, 0xbf167918, v109
	v_fmac_f32_e32 v66, 0x3f167918, v108
	v_fmac_f32_e32 v105, 0xbf167918, v108
	v_mul_f32_e32 v108, 0x3e9e377a, v139
	v_mul_f32_e32 v109, 0xbf4f1bbd, v125
	v_add_f32_e32 v113, v10, v31
	v_fmac_f32_e32 v112, 0x3f167918, v133
	v_fmac_f32_e32 v110, 0x3e9e377a, v111
	;; [unrolled: 1-line block ×8, first 2 shown]
	v_sub_f32_e32 v7, v8, v7
	v_lshl_add_u32 v48, v73, 2, 0
	v_add_nc_u32_e32 v49, 0x1800, v0
	v_add_nc_u32_e32 v50, 0x2a00, v0
	v_add_f32_e32 v115, v114, v113
	v_add_f32_e32 v63, v110, v112
	;; [unrolled: 1-line block ×4, first 2 shown]
	v_sub_f32_e32 v111, v114, v113
	v_add_f32_e32 v113, v79, v109
	v_add_nc_u32_e32 v37, 0x800, v0
	v_sub_f32_e32 v110, v110, v112
	v_sub_f32_e32 v66, v66, v108
	v_add_nc_u32_e32 v42, 0x1000, v0
	ds_write2_b32 v78, v45, v7 offset0:80 offset1:90
	s_waitcnt lgkmcnt(0)
	s_barrier
	buffer_gl0_inv
	v_add_nc_u32_e32 v44, 0x2200, v0
	v_add_nc_u32_e32 v40, 0x2e00, v0
	v_add_nc_u32_e32 v38, 0x1400, v0
	v_add_nc_u32_e32 v41, 0x2600, v0
	v_add_nc_u32_e32 v45, 0xc00, v0
	v_add_nc_u32_e32 v47, 0x1e00, v0
	v_add_nc_u32_e32 v46, 0x3200, v0
	ds_read_b32 v62, v48 offset:1920
	ds_read_b32 v67, v0 offset:13920
	ds_read2_b32 v[9:10], v0 offset1:120
	ds_read2_b32 v[33:34], v37 offset0:88 offset1:208
	ds_read2_b32 v[25:26], v42 offset0:56 offset1:176
	;; [unrolled: 1-line block ×13, first 2 shown]
	s_waitcnt lgkmcnt(0)
	s_barrier
	buffer_gl0_inv
	ds_write2_b32 v5, v115, v63 offset1:10
	ds_write2_b32 v5, v72, v75 offset0:20 offset1:30
	ds_write2_b32 v5, v113, v111 offset0:40 offset1:50
	;; [unrolled: 1-line block ×3, first 2 shown]
	v_add_f32_e32 v72, v101, v65
	v_sub_f32_e32 v64, v64, v65
	v_sub_f32_e32 v65, v57, v60
	v_fmamk_f32 v75, v102, 0x3f737871, v100
	v_add_f32_e32 v61, v96, v61
	v_add_f32_e32 v60, v72, v60
	v_sub_f32_e32 v6, v6, v59
	v_add_f32_e32 v64, v64, v65
	v_fmac_f32_e32 v75, 0x3f167918, v99
	v_add_f32_e32 v58, v61, v58
	v_add_f32_e32 v57, v60, v57
	v_mul_f32_e32 v60, 0x3f4f1bbd, v69
	v_add_f32_e32 v55, v83, v55
	v_fmac_f32_e32 v75, 0x3e9e377a, v64
	v_add_f32_e32 v58, v58, v93
	v_fmac_f32_e32 v100, 0xbf737871, v102
	v_fmac_f32_e32 v60, 0x3f167918, v71
	v_add_f32_e32 v52, v55, v52
	v_fmac_f32_e32 v103, 0x3f167918, v102
	v_add_f32_e32 v65, v57, v58
	v_sub_f32_e32 v57, v57, v58
	v_add_f32_e32 v69, v75, v60
	v_sub_f32_e32 v60, v75, v60
	;; [unrolled: 2-line block ×3, first 2 shown]
	v_fmamk_f32 v75, v91, 0x3f737871, v86
	v_fmac_f32_e32 v86, 0xbf737871, v91
	v_fmac_f32_e32 v100, 0xbf167918, v99
	v_add_f32_e32 v56, v58, v56
	v_add_f32_e32 v6, v6, v59
	v_fmac_f32_e32 v75, 0x3f167918, v89
	v_fmac_f32_e32 v86, 0xbf167918, v89
	v_add_f32_e32 v52, v52, v54
	v_add_f32_e32 v53, v56, v53
	v_mul_f32_e32 v61, 0x3e9e377a, v98
	v_fmac_f32_e32 v75, 0x3e9e377a, v6
	v_fmac_f32_e32 v86, 0x3e9e377a, v6
	v_mul_f32_e32 v6, 0x3f4f1bbd, v70
	v_fmac_f32_e32 v100, 0x3e9e377a, v64
	v_mul_f32_e32 v64, 0xbf4f1bbd, v95
	v_add_f32_e32 v54, v53, v52
	v_sub_f32_e32 v59, v53, v52
	v_fmac_f32_e32 v6, 0x3f167918, v77
	v_fmac_f32_e32 v103, 0x3e9e377a, v104
	;; [unrolled: 1-line block ×5, first 2 shown]
	v_add_f32_e32 v52, v75, v6
	v_sub_f32_e32 v70, v75, v6
	v_add_nc_u32_e32 v6, 0xffffff9c, v73
	v_mul_f32_e32 v55, 0x3e9e377a, v84
	v_sub_f32_e32 v63, v105, v76
	v_sub_f32_e32 v66, v79, v109
	v_add_f32_e32 v71, v103, v61
	v_cndmask_b32_e64 v58, v6, v73, s0
	v_add_f32_e32 v72, v100, v64
	v_fmac_f32_e32 v87, 0x3e9e377a, v88
	v_fmac_f32_e32 v55, 0x3f737871, v85
	v_sub_f32_e32 v61, v103, v61
	v_mul_f32_e32 v56, 0xbf4f1bbd, v82
	ds_write2_b32 v5, v63, v66 offset0:80 offset1:90
	ds_write2_b32 v68, v65, v69 offset1:10
	ds_write2_b32 v68, v71, v106 offset0:20 offset1:30
	ds_write2_b32 v68, v72, v57 offset0:40 offset1:50
	v_mul_i32_i24_e32 v5, 5, v58
	v_mov_b32_e32 v6, 0
	v_sub_f32_e32 v64, v100, v64
	v_add_f32_e32 v53, v87, v55
	v_fmac_f32_e32 v56, 0x3f167918, v80
	ds_write2_b32 v68, v60, v61 offset0:60 offset1:70
	ds_write2_b32 v68, v107, v64 offset0:80 offset1:90
	ds_write2_b32 v78, v54, v52 offset1:10
	ds_write2_b32 v78, v53, v92 offset0:20 offset1:30
	v_lshlrev_b64 v[52:53], 3, v[5:6]
	v_mul_lo_u16 v5, v74, 41
	v_lshrrev_b16 v54, 2, v36
	v_mov_b32_e32 v57, 0x147b
	v_add_f32_e32 v75, v86, v56
	v_add_nc_u16 v61, v73, 0x168
	v_lshrrev_b16 v83, 12, v5
	v_sub_f32_e32 v55, v87, v55
	v_mul_u32_u24_sdwa v5, v54, v57 dst_sel:DWORD dst_unused:UNUSED_PAD src0_sel:WORD_0 src1_sel:DWORD
	v_sub_f32_e32 v56, v86, v56
	ds_write2_b32 v78, v75, v59 offset0:40 offset1:50
	ds_write2_b32 v78, v70, v55 offset0:60 offset1:70
	;; [unrolled: 1-line block ×3, first 2 shown]
	v_add_co_u32 v59, s0, s12, v52
	v_mul_lo_u16 v52, 0x64, v83
	v_lshrrev_b32_e32 v75, 17, v5
	v_lshrrev_b16 v5, 2, v61
	v_add_co_ci_u32_e64 v60, s0, s13, v53, s0
	v_sub_nc_u16 v92, v35, v52
	v_mov_b32_e32 v35, 5
	v_mul_lo_u16 v53, 0x64, v75
	v_mul_u32_u24_sdwa v5, v5, v57 dst_sel:DWORD dst_unused:UNUSED_PAD src0_sel:WORD_0 src1_sel:DWORD
	v_add_nc_u32_e32 v52, 0x1e0, v73
	s_waitcnt lgkmcnt(0)
	v_mul_u32_u24_sdwa v63, v92, v35 dst_sel:DWORD dst_unused:UNUSED_PAD src0_sel:BYTE_0 src1_sel:DWORD
	v_sub_nc_u16 v86, v36, v53
	v_lshrrev_b32_e32 v71, 17, v5
	v_lshrrev_b16 v5, 2, v52
	s_barrier
	v_lshlrev_b32_e32 v36, 3, v63
	v_mul_u32_u24_sdwa v63, v86, v35 dst_sel:DWORD dst_unused:UNUSED_PAD src0_sel:WORD_0 src1_sel:DWORD
	buffer_gl0_inv
	v_mul_u32_u24_sdwa v5, v5, v57 dst_sel:DWORD dst_unused:UNUSED_PAD src0_sel:WORD_0 src1_sel:DWORD
	v_mul_lo_u16 v57, 0x64, v71
	global_load_dwordx4 v[53:56], v[59:60], off offset:720
	v_lshlrev_b32_e32 v63, 3, v63
	global_load_dwordx4 v[93:96], v36, s[12:13] offset:720
	v_lshrrev_b32_e32 v64, 17, v5
	v_sub_nc_u16 v84, v61, v57
	v_cmp_lt_u32_e64 s0, 0x63, v73
	global_load_dwordx4 v[97:100], v63, s[12:13] offset:720
	v_mul_lo_u16 v5, 0x64, v64
	v_mul_u32_u24_sdwa v57, v84, v35 dst_sel:DWORD dst_unused:UNUSED_PAD src0_sel:WORD_0 src1_sel:DWORD
	v_sub_nc_u16 v65, v52, v5
	v_lshlrev_b32_e32 v5, 3, v57
	v_mul_u32_u24_sdwa v35, v65, v35 dst_sel:DWORD dst_unused:UNUSED_PAD src0_sel:WORD_0 src1_sel:DWORD
	global_load_dwordx4 v[101:104], v5, s[12:13] offset:720
	v_lshlrev_b32_e32 v35, 3, v35
	s_clause 0xa
	global_load_dwordx4 v[105:108], v35, s[12:13] offset:720
	global_load_dwordx4 v[109:112], v[59:60], off offset:736
	global_load_dwordx4 v[113:116], v36, s[12:13] offset:736
	global_load_dwordx4 v[117:120], v63, s[12:13] offset:736
	;; [unrolled: 1-line block ×4, first 2 shown]
	global_load_dwordx2 v[129:130], v[59:60], off offset:752
	global_load_dwordx2 v[131:132], v36, s[12:13] offset:752
	global_load_dwordx2 v[133:134], v63, s[12:13] offset:752
	;; [unrolled: 1-line block ×4, first 2 shown]
	ds_read2_b32 v[59:60], v37 offset0:88 offset1:208
	ds_read2_b32 v[76:77], v42 offset0:56 offset1:176
	;; [unrolled: 1-line block ×4, first 2 shown]
	s_waitcnt vmcnt(14) lgkmcnt(3)
	v_mul_f32_e32 v66, v59, v54
	v_mul_f32_e32 v5, v33, v54
	s_waitcnt lgkmcnt(2)
	v_mul_f32_e32 v89, v77, v56
	v_mul_f32_e32 v54, v26, v56
	s_waitcnt vmcnt(13)
	v_mul_f32_e32 v57, v60, v94
	s_waitcnt lgkmcnt(1)
	v_mul_f32_e32 v72, v69, v96
	v_fmac_f32_e32 v66, v33, v53
	v_fmac_f32_e32 v89, v26, v55
	v_fma_f32 v26, v77, v55, -v54
	ds_read2_b32 v[77:78], v49 offset0:24 offset1:144
	s_waitcnt vmcnt(12)
	v_mul_f32_e32 v55, v70, v100
	v_fma_f32 v79, v59, v53, -v5
	v_mul_f32_e32 v5, v34, v94
	v_fmac_f32_e32 v57, v34, v93
	v_mul_f32_e32 v33, v31, v96
	v_mul_f32_e32 v34, v32, v100
	v_fmac_f32_e32 v72, v31, v95
	v_fmac_f32_e32 v55, v32, v99
	s_waitcnt lgkmcnt(1)
	v_mul_f32_e32 v54, v87, v98
	ds_read2_b32 v[31:32], v43 offset0:8 offset1:128
	v_fma_f32 v68, v60, v93, -v5
	v_mul_f32_e32 v5, v29, v98
	s_waitcnt vmcnt(11)
	v_mul_f32_e32 v63, v88, v102
	v_fmac_f32_e32 v54, v29, v97
	v_mul_f32_e32 v29, v30, v102
	v_fma_f32 v81, v69, v95, -v33
	v_fma_f32 v59, v70, v99, -v34
	ds_read2_b32 v[33:34], v44 offset0:104 offset1:224
	v_fmac_f32_e32 v63, v30, v101
	v_fma_f32 v69, v88, v101, -v29
	ds_read2_b32 v[29:30], v41 offset0:88 offset1:208
	s_waitcnt lgkmcnt(3)
	v_mul_f32_e32 v70, v77, v104
	v_fma_f32 v60, v87, v97, -v5
	v_mul_f32_e32 v53, v27, v104
	s_waitcnt vmcnt(10)
	v_mul_f32_e32 v61, v25, v106
	v_mul_f32_e32 v56, v78, v108
	v_fmac_f32_e32 v70, v27, v103
	v_mul_f32_e32 v27, v28, v108
	s_waitcnt vmcnt(9)
	v_mul_f32_e32 v74, v23, v110
	s_waitcnt lgkmcnt(2)
	v_mul_f32_e32 v94, v31, v110
	ds_read2_b32 v[87:88], v47 offset0:120 offset1:240
	v_mul_f32_e32 v5, v76, v106
	v_fma_f32 v77, v77, v103, -v53
	v_fma_f32 v53, v76, v105, -v61
	v_fmac_f32_e32 v56, v28, v107
	v_fma_f32 v61, v78, v107, -v27
	v_fmac_f32_e32 v94, v23, v109
	v_fma_f32 v95, v31, v109, -v74
	s_waitcnt vmcnt(8)
	v_mul_f32_e32 v96, v32, v114
	v_mul_f32_e32 v23, v24, v114
	ds_read2_b32 v[27:28], v50 offset0:72 offset1:192
	v_mul_f32_e32 v31, v21, v116
	v_fmac_f32_e32 v5, v25, v105
	s_waitcnt lgkmcnt(3)
	v_mul_f32_e32 v25, v34, v112
	s_waitcnt lgkmcnt(2)
	v_mul_f32_e32 v90, v29, v116
	v_fmac_f32_e32 v96, v24, v113
	v_fma_f32 v24, v32, v113, -v23
	v_fma_f32 v91, v29, v115, -v31
	s_waitcnt vmcnt(7)
	v_mul_f32_e32 v29, v22, v120
	ds_read2_b32 v[31:32], v40 offset0:56 offset1:176
	v_fmac_f32_e32 v25, v16, v111
	v_mul_f32_e32 v16, v16, v112
	v_mul_f32_e32 v80, v30, v120
	v_fma_f32 v82, v30, v119, -v29
	ds_read2_b32 v[29:30], v46 offset0:40 offset1:160
	v_fmac_f32_e32 v90, v21, v115
	v_fma_f32 v16, v34, v111, -v16
	s_waitcnt lgkmcnt(3)
	v_mul_f32_e32 v21, v87, v118
	v_mul_f32_e32 v34, v19, v118
	v_fmac_f32_e32 v80, v22, v119
	s_waitcnt vmcnt(5)
	v_mul_f32_e32 v74, v15, v126
	s_waitcnt lgkmcnt(2)
	v_mul_f32_e32 v76, v28, v128
	v_fmac_f32_e32 v21, v19, v117
	v_fma_f32 v22, v87, v117, -v34
	v_mul_f32_e32 v87, v27, v124
	v_mul_f32_e32 v19, v33, v126
	;; [unrolled: 1-line block ×4, first 2 shown]
	v_fmac_f32_e32 v76, v18, v127
	v_fmac_f32_e32 v87, v17, v123
	;; [unrolled: 1-line block ×3, first 2 shown]
	v_fma_f32 v15, v33, v125, -v74
	v_mul_f32_e32 v17, v18, v128
	ds_read_b32 v33, v0 offset:13920
	ds_read_b32 v99, v48 offset:1920
	s_waitcnt vmcnt(3) lgkmcnt(3)
	v_mul_f32_e32 v98, v32, v132
	v_mul_f32_e32 v18, v14, v132
	v_fmac_f32_e32 v23, v20, v121
	v_mul_f32_e32 v20, v20, v122
	v_fma_f32 v78, v27, v123, -v34
	v_mul_f32_e32 v27, v31, v130
	v_mul_f32_e32 v34, v13, v130
	v_fma_f32 v74, v28, v127, -v17
	v_fmac_f32_e32 v98, v14, v131
	s_waitcnt vmcnt(2) lgkmcnt(2)
	v_mul_f32_e32 v17, v29, v134
	v_mul_f32_e32 v28, v11, v134
	v_fma_f32 v93, v32, v131, -v18
	v_fma_f32 v20, v88, v121, -v20
	v_fmac_f32_e32 v27, v13, v129
	v_fma_f32 v13, v31, v129, -v34
	s_waitcnt vmcnt(1)
	v_mul_f32_e32 v31, v12, v136
	v_fmac_f32_e32 v17, v11, v133
	v_fma_f32 v88, v29, v133, -v28
	v_add_f32_e32 v11, v24, v93
	v_add_f32_e32 v28, v96, v98
	v_mul_f32_e32 v14, v30, v136
	v_fma_f32 v85, v30, v135, -v31
	v_add_f32_e32 v100, v68, v24
	v_fmac_f32_e32 v68, -0.5, v11
	v_sub_f32_e32 v11, v96, v98
	v_add_f32_e32 v30, v57, v96
	v_fmac_f32_e32 v57, -0.5, v28
	v_sub_f32_e32 v24, v24, v93
	v_fmac_f32_e32 v14, v12, v135
	s_waitcnt vmcnt(0) lgkmcnt(1)
	v_mul_f32_e32 v12, v33, v36
	v_add_f32_e32 v18, v72, v90
	v_fmamk_f32 v101, v11, 0x3f5db3d7, v68
	v_fmac_f32_e32 v68, 0xbf5db3d7, v11
	v_fmamk_f32 v102, v24, 0xbf5db3d7, v57
	v_fmac_f32_e32 v57, 0x3f5db3d7, v24
	v_mul_f32_e32 v24, v67, v36
	v_add_f32_e32 v31, v95, v13
	v_add_f32_e32 v29, v10, v72
	v_fmac_f32_e32 v10, -0.5, v18
	v_sub_f32_e32 v11, v81, v91
	v_mul_f32_e32 v18, 0xbf5db3d7, v68
	v_fmac_f32_e32 v12, v67, v35
	v_fma_f32 v67, v33, v35, -v24
	v_add_f32_e32 v24, v94, v27
	v_add_f32_e32 v32, v79, v95
	v_fmac_f32_e32 v79, -0.5, v31
	v_sub_f32_e32 v31, v94, v27
	v_fmamk_f32 v28, v11, 0xbf5db3d7, v10
	v_fmac_f32_e32 v10, 0x3f5db3d7, v11
	v_add_f32_e32 v11, v89, v25
	v_fmac_f32_e32 v18, -0.5, v57
	v_add_f32_e32 v34, v66, v94
	v_fmac_f32_e32 v66, -0.5, v24
	v_sub_f32_e32 v24, v95, v13
	v_fmamk_f32 v35, v31, 0x3f5db3d7, v79
	v_fma_f32 v11, -0.5, v11, v9
	v_add_f32_e32 v33, v10, v18
	v_add_f32_e32 v9, v9, v89
	v_fmamk_f32 v103, v24, 0xbf5db3d7, v66
	v_mul_f32_e32 v104, 0xbf5db3d7, v35
	v_sub_f32_e32 v10, v10, v18
	v_add_f32_e32 v18, v34, v27
	v_sub_f32_e32 v27, v26, v16
	v_lshlrev_b32_e32 v36, 2, v58
	v_cndmask_b32_e64 v58, 0, 0x960, s0
	v_add_f32_e32 v9, v9, v25
	v_fmac_f32_e32 v104, 0.5, v103
	v_fmac_f32_e32 v79, 0xbf5db3d7, v31
	v_fmamk_f32 v31, v27, 0xbf5db3d7, v11
	v_add3_u32 v58, 0, v58, v36
	v_fmac_f32_e32 v66, 0x3f5db3d7, v24
	v_add_f32_e32 v34, v9, v18
	v_mul_f32_e32 v24, 0xbf5db3d7, v79
	v_add_f32_e32 v36, v31, v104
	v_fmac_f32_e32 v11, 0x3f5db3d7, v27
	v_mov_b32_e32 v27, 0x960
	ds_read2_b32 v[94:95], v0 offset1:120
	ds_read2_b32 v[96:97], v39 offset0:112 offset1:232
	s_waitcnt lgkmcnt(0)
	v_fmac_f32_e32 v24, -0.5, v66
	s_barrier
	buffer_gl0_inv
	ds_write2_b32 v58, v34, v36 offset1:100
	v_mul_u32_u24_sdwa v27, v83, v27 dst_sel:DWORD dst_unused:UNUSED_PAD src0_sel:WORD_0 src1_sel:DWORD
	v_lshlrev_b32_sdwa v34, v51, v92 dst_sel:DWORD dst_unused:UNUSED_PAD src0_sel:DWORD src1_sel:BYTE_0
	v_sub_f32_e32 v9, v9, v18
	v_add_f32_e32 v18, v11, v24
	v_add_nc_u32_e32 v105, 0x200, v58
	v_sub_f32_e32 v11, v11, v24
	v_mul_f32_e32 v24, 0xbf5db3d7, v101
	v_add_f32_e32 v30, v30, v98
	v_add_f32_e32 v29, v29, v90
	v_add3_u32 v83, 0, v27, v34
	v_add_f32_e32 v27, v20, v85
	v_sub_f32_e32 v31, v31, v104
	v_add_nc_u32_e32 v104, 0x400, v58
	v_fmac_f32_e32 v24, 0.5, v102
	ds_write2_b32 v105, v18, v9 offset0:72 offset1:172
	v_add_f32_e32 v9, v29, v30
	v_sub_f32_e32 v18, v29, v30
	v_add_f32_e32 v29, v23, v14
	v_add_f32_e32 v98, v69, v20
	v_fmac_f32_e32 v69, -0.5, v27
	v_sub_f32_e32 v27, v23, v14
	ds_write2_b32 v104, v31, v11 offset0:144 offset1:244
	v_add_f32_e32 v11, v28, v24
	v_sub_f32_e32 v24, v28, v24
	v_add_f32_e32 v28, v70, v87
	v_add_f32_e32 v23, v63, v23
	v_fmac_f32_e32 v63, -0.5, v29
	v_sub_f32_e32 v20, v20, v85
	v_fmamk_f32 v106, v27, 0x3f5db3d7, v69
	v_fmac_f32_e32 v69, 0xbf5db3d7, v27
	v_add_nc_u32_e32 v92, 0x200, v83
	v_add_nc_u32_e32 v108, 0x400, v83
	v_add_f32_e32 v30, v8, v70
	v_fmac_f32_e32 v8, -0.5, v28
	v_sub_f32_e32 v27, v77, v78
	v_fmamk_f32 v107, v20, 0xbf5db3d7, v63
	v_fmac_f32_e32 v63, 0x3f5db3d7, v20
	v_mul_f32_e32 v20, 0xbf5db3d7, v69
	ds_write2_b32 v83, v9, v11 offset1:100
	ds_write2_b32 v92, v33, v18 offset0:72 offset1:172
	ds_write2_b32 v108, v24, v10 offset0:144 offset1:244
	v_add_f32_e32 v11, v22, v88
	v_fmamk_f32 v28, v27, 0xbf5db3d7, v8
	v_fmac_f32_e32 v8, 0x3f5db3d7, v27
	v_fmac_f32_e32 v20, -0.5, v63
	v_add_f32_e32 v18, v21, v17
	v_add_f32_e32 v109, v60, v22
	v_fmac_f32_e32 v60, -0.5, v11
	v_sub_f32_e32 v11, v21, v17
	v_add_f32_e32 v27, v55, v80
	v_add_f32_e32 v10, v8, v20
	v_sub_f32_e32 v8, v8, v20
	v_add_f32_e32 v20, v54, v21
	v_fmac_f32_e32 v54, -0.5, v18
	v_sub_f32_e32 v18, v22, v88
	v_fmamk_f32 v110, v11, 0x3f5db3d7, v60
	v_fma_f32 v9, -0.5, v27, v7
	v_add_f32_e32 v17, v20, v17
	v_mul_u32_u24_e32 v20, 0x960, v75
	v_fmac_f32_e32 v60, 0xbf5db3d7, v11
	v_fmamk_f32 v75, v18, 0xbf5db3d7, v54
	v_mul_f32_e32 v11, 0xbf5db3d7, v110
	v_sub_f32_e32 v22, v59, v82
	v_lshlrev_b32_sdwa v21, v51, v86 dst_sel:DWORD dst_unused:UNUSED_PAD src0_sel:DWORD src1_sel:WORD_0
	v_add_f32_e32 v7, v7, v55
	v_fmac_f32_e32 v54, 0x3f5db3d7, v18
	v_fmac_f32_e32 v11, 0.5, v75
	v_fmamk_f32 v24, v22, 0xbf5db3d7, v9
	v_mul_f32_e32 v18, 0xbf5db3d7, v60
	v_fmac_f32_e32 v9, 0x3f5db3d7, v22
	v_mul_f32_e32 v22, 0xbf5db3d7, v106
	v_add3_u32 v86, 0, v20, v21
	v_add_f32_e32 v21, v24, v11
	v_sub_f32_e32 v11, v24, v11
	v_mul_u32_u24_e32 v24, 0x960, v71
	v_lshlrev_b32_sdwa v27, v51, v84 dst_sel:DWORD dst_unused:UNUSED_PAD src0_sel:DWORD src1_sel:WORD_0
	v_add_f32_e32 v7, v7, v80
	v_fmac_f32_e32 v18, -0.5, v54
	v_add_f32_e32 v14, v23, v14
	v_add_f32_e32 v23, v30, v87
	v_fmac_f32_e32 v22, 0.5, v107
	v_add3_u32 v71, 0, v24, v27
	v_add_f32_e32 v20, v7, v17
	v_sub_f32_e32 v7, v7, v17
	v_add_f32_e32 v17, v9, v18
	v_add_nc_u32_e32 v111, 0x200, v86
	v_sub_f32_e32 v9, v9, v18
	v_add_nc_u32_e32 v84, 0x400, v86
	v_add_f32_e32 v18, v23, v14
	v_add_f32_e32 v24, v28, v22
	v_sub_f32_e32 v14, v23, v14
	v_add_nc_u32_e32 v112, 0x200, v71
	ds_write2_b32 v86, v20, v21 offset1:100
	ds_write2_b32 v111, v17, v7 offset0:72 offset1:172
	ds_write2_b32 v84, v11, v9 offset0:144 offset1:244
	ds_write2_b32 v71, v18, v24 offset1:100
	ds_write2_b32 v112, v10, v14 offset0:72 offset1:172
	v_add_f32_e32 v10, v15, v67
	v_add_f32_e32 v9, v56, v76
	;; [unrolled: 1-line block ×5, first 2 shown]
	v_fmac_f32_e32 v53, -0.5, v10
	v_sub_f32_e32 v10, v19, v12
	v_add_f32_e32 v11, v62, v56
	v_fmac_f32_e32 v62, -0.5, v9
	v_fmac_f32_e32 v5, -0.5, v14
	v_add_f32_e32 v9, v17, v12
	v_sub_f32_e32 v12, v15, v67
	v_fmamk_f32 v115, v10, 0x3f5db3d7, v53
	v_lshlrev_b32_sdwa v14, v51, v65 dst_sel:DWORD dst_unused:UNUSED_PAD src0_sel:DWORD src1_sel:WORD_0
	v_fmac_f32_e32 v53, 0xbf5db3d7, v10
	v_sub_f32_e32 v17, v61, v74
	v_fmamk_f32 v51, v12, 0xbf5db3d7, v5
	v_mul_f32_e32 v10, 0xbf5db3d7, v115
	v_mul_u32_u24_e32 v15, 0x960, v64
	v_add_f32_e32 v11, v11, v76
	v_fmamk_f32 v18, v17, 0xbf5db3d7, v62
	v_sub_f32_e32 v7, v28, v22
	v_fmac_f32_e32 v10, 0.5, v51
	v_add_nc_u32_e32 v113, 0x400, v71
	v_add3_u32 v64, 0, v15, v14
	v_add_f32_e32 v14, v11, v9
	v_fmac_f32_e32 v5, 0x3f5db3d7, v12
	v_add_f32_e32 v15, v18, v10
	ds_write2_b32 v113, v7, v8 offset0:144 offset1:244
	ds_write2_b32 v64, v14, v15 offset1:100
	v_add_f32_e32 v8, v26, v16
	v_mul_f32_e32 v12, 0xbf5db3d7, v53
	v_add_f32_e32 v7, v94, v26
	v_mul_f32_e32 v116, 0.5, v35
	v_sub_f32_e32 v89, v89, v25
	v_fma_f32 v94, -0.5, v8, v94
	v_mul_f32_e32 v79, -0.5, v79
	v_fmac_f32_e32 v62, 0x3f5db3d7, v17
	v_fmac_f32_e32 v12, -0.5, v5
	v_add_f32_e32 v117, v7, v16
	v_add_f32_e32 v118, v32, v13
	v_fmac_f32_e32 v116, 0x3f5db3d7, v103
	v_fmamk_f32 v103, v89, 0x3f5db3d7, v94
	v_fmac_f32_e32 v94, 0xbf5db3d7, v89
	v_add_f32_e32 v89, v81, v91
	v_fmac_f32_e32 v79, 0x3f5db3d7, v66
	v_add_f32_e32 v81, v95, v81
	v_sub_f32_e32 v9, v11, v9
	v_add_f32_e32 v11, v62, v12
	v_add_nc_u32_e32 v65, 0x200, v64
	v_add_f32_e32 v66, v117, v118
	v_fmac_f32_e32 v95, -0.5, v89
	v_add_f32_e32 v89, v103, v116
	v_sub_f32_e32 v10, v18, v10
	v_sub_f32_e32 v12, v62, v12
	v_add_nc_u32_e32 v62, 0x400, v64
	v_sub_f32_e32 v72, v72, v90
	v_sub_f32_e32 v90, v117, v118
	v_add_f32_e32 v81, v81, v91
	v_add_f32_e32 v91, v100, v93
	;; [unrolled: 1-line block ×3, first 2 shown]
	ds_write2_b32 v65, v11, v9 offset0:72 offset1:172
	ds_write2_b32 v62, v10, v12 offset0:144 offset1:244
	s_waitcnt lgkmcnt(0)
	s_barrier
	buffer_gl0_inv
	ds_read_b32 v35, v48 offset:1920
	ds_read_b32 v36, v0 offset:13920
	ds_read2_b32 v[7:8], v0 offset1:120
	ds_read2_b32 v[13:14], v37 offset0:88 offset1:208
	ds_read2_b32 v[9:10], v42 offset0:56 offset1:176
	;; [unrolled: 1-line block ×13, first 2 shown]
	s_waitcnt lgkmcnt(0)
	s_barrier
	buffer_gl0_inv
	ds_write2_b32 v58, v66, v89 offset1:100
	ds_write2_b32 v105, v100, v90 offset0:72 offset1:172
	v_mul_f32_e32 v58, -0.5, v68
	v_add_f32_e32 v66, v77, v78
	v_mul_f32_e32 v101, 0.5, v101
	v_fmamk_f32 v93, v72, 0x3f5db3d7, v95
	v_fmac_f32_e32 v95, 0xbf5db3d7, v72
	v_fmac_f32_e32 v58, 0x3f5db3d7, v57
	v_add_f32_e32 v68, v97, v77
	v_fmac_f32_e32 v97, -0.5, v66
	v_sub_f32_e32 v66, v70, v87
	v_fmac_f32_e32 v101, 0x3f5db3d7, v102
	v_sub_f32_e32 v102, v103, v116
	v_sub_f32_e32 v79, v94, v79
	;; [unrolled: 1-line block ×3, first 2 shown]
	v_add_f32_e32 v70, v95, v58
	v_mul_f32_e32 v69, -0.5, v69
	v_fmamk_f32 v77, v66, 0x3f5db3d7, v97
	v_fmac_f32_e32 v97, 0xbf5db3d7, v66
	v_add_f32_e32 v66, v59, v82
	v_add_f32_e32 v94, v81, v91
	;; [unrolled: 1-line block ×3, first 2 shown]
	v_sub_f32_e32 v58, v95, v58
	v_sub_f32_e32 v72, v93, v101
	ds_write2_b32 v104, v102, v79 offset0:144 offset1:244
	ds_write2_b32 v83, v94, v103 offset1:100
	v_fmac_f32_e32 v69, 0x3f5db3d7, v63
	ds_write2_b32 v92, v70, v57 offset0:72 offset1:172
	ds_write2_b32 v108, v72, v58 offset0:144 offset1:244
	v_add_f32_e32 v57, v96, v59
	v_fma_f32 v58, -0.5, v66, v96
	v_sub_f32_e32 v55, v55, v80
	v_mul_f32_e32 v60, -0.5, v60
	v_mul_f32_e32 v66, 0.5, v110
	v_add_f32_e32 v59, v97, v69
	v_sub_f32_e32 v63, v97, v69
	v_add_f32_e32 v57, v57, v82
	v_add_f32_e32 v69, v109, v88
	v_fmamk_f32 v70, v55, 0x3f5db3d7, v58
	v_fmac_f32_e32 v58, 0xbf5db3d7, v55
	v_fmac_f32_e32 v60, 0x3f5db3d7, v54
	;; [unrolled: 1-line block ×3, first 2 shown]
	v_add_f32_e32 v54, v57, v69
	v_sub_f32_e32 v55, v57, v69
	v_sub_f32_e32 v56, v56, v76
	v_add_f32_e32 v69, v58, v60
	v_sub_f32_e32 v58, v58, v60
	v_add_f32_e32 v60, v61, v74
	v_add_f32_e32 v57, v70, v66
	v_sub_f32_e32 v66, v70, v66
	v_mul_f32_e32 v70, 0.5, v106
	v_add_f32_e32 v61, v99, v61
	v_fmac_f32_e32 v99, -0.5, v60
	v_mul_f32_e32 v75, 0.5, v115
	v_mul_f32_e32 v53, -0.5, v53
	v_add_f32_e32 v68, v68, v78
	v_add_f32_e32 v72, v98, v85
	v_fmac_f32_e32 v70, 0x3f5db3d7, v107
	v_add_f32_e32 v61, v61, v74
	v_add_f32_e32 v67, v114, v67
	v_fmamk_f32 v74, v56, 0x3f5db3d7, v99
	v_fmac_f32_e32 v75, 0x3f5db3d7, v51
	v_fmac_f32_e32 v99, 0xbf5db3d7, v56
	;; [unrolled: 1-line block ×3, first 2 shown]
	v_add_f32_e32 v60, v68, v72
	v_sub_f32_e32 v68, v68, v72
	v_add_f32_e32 v72, v77, v70
	v_sub_f32_e32 v70, v77, v70
	;; [unrolled: 2-line block ×5, first 2 shown]
	ds_write2_b32 v86, v54, v57 offset1:100
	ds_write2_b32 v111, v69, v55 offset0:72 offset1:172
	ds_write2_b32 v84, v66, v58 offset0:144 offset1:244
	ds_write2_b32 v71, v60, v72 offset1:100
	ds_write2_b32 v112, v59, v68 offset0:72 offset1:172
	ds_write2_b32 v113, v70, v63 offset0:144 offset1:244
	;; [unrolled: 3-line block ×3, first 2 shown]
	s_waitcnt lgkmcnt(0)
	s_barrier
	buffer_gl0_inv
	s_and_saveexec_b32 s0, vcc_lo
	s_cbranch_execz .LBB0_15
; %bb.14:
	v_mul_u32_u24_e32 v5, 5, v52
	v_mul_u32_u24_e32 v56, 5, v73
	v_mul_lo_u32 v119, s2, v4
	v_mul_lo_u32 v118, s3, v3
	v_mad_u64_u32 v[106:107], null, s2, v3, 0
	v_lshlrev_b32_e32 v51, 3, v5
	v_mad_u32_u24 v5, v52, 5, 0xfffffda8
	v_add_co_u32 v51, s0, s12, v51
	v_add_co_ci_u32_e64 v55, null, s13, 0, s0
	v_lshlrev_b64 v[61:62], 3, v[5:6]
	v_lshlrev_b32_e32 v5, 3, v56
	v_add_co_u32 v53, vcc_lo, 0x1000, v51
	v_add_co_ci_u32_e32 v54, vcc_lo, 0, v55, vcc_lo
	v_add_co_u32 v57, vcc_lo, 0x1270, v51
	v_add_co_u32 v5, s0, s12, v5
	v_add_co_ci_u32_e32 v58, vcc_lo, 0, v55, vcc_lo
	v_add_co_ci_u32_e64 v51, null, s13, 0, s0
	v_add_co_u32 v74, vcc_lo, s12, v61
	v_add_co_ci_u32_e32 v75, vcc_lo, s13, v62, vcc_lo
	v_add_co_u32 v69, vcc_lo, 0x1270, v5
	v_add_co_ci_u32_e32 v70, vcc_lo, 0, v51, vcc_lo
	;; [unrolled: 2-line block ×4, first 2 shown]
	v_add_co_u32 v78, vcc_lo, 0x1270, v74
	v_mad_u32_u24 v5, v52, 5, 0xfffffb50
	v_add_co_ci_u32_e32 v79, vcc_lo, 0, v75, vcc_lo
	s_clause 0x8
	global_load_dwordx4 v[53:56], v[53:54], off offset:624
	global_load_dwordx2 v[94:95], v[57:58], off offset:32
	global_load_dwordx4 v[57:60], v[57:58], off offset:16
	global_load_dwordx4 v[61:64], v[61:62], off offset:624
	;; [unrolled: 1-line block ×3, first 2 shown]
	global_load_dwordx2 v[96:97], v[69:70], off offset:32
	global_load_dwordx4 v[69:72], v[71:72], off offset:624
	global_load_dwordx4 v[74:77], v[78:79], off offset:16
	global_load_dwordx2 v[98:99], v[78:79], off offset:32
	v_lshlrev_b64 v[78:79], 3, v[5:6]
	v_add3_u32 v107, v107, v119, v118
	v_add_co_u32 v5, vcc_lo, s12, v78
	v_add_co_ci_u32_e32 v51, vcc_lo, s13, v79, vcc_lo
	v_add_co_u32 v78, vcc_lo, 0x1000, v5
	v_add_co_ci_u32_e32 v79, vcc_lo, 0, v51, vcc_lo
	v_add_co_u32 v86, vcc_lo, 0x1270, v5
	v_mad_u32_u24 v5, v52, 5, 0xfffff8f8
	v_add_co_ci_u32_e32 v87, vcc_lo, 0, v51, vcc_lo
	s_clause 0x2
	global_load_dwordx4 v[78:81], v[78:79], off offset:624
	global_load_dwordx4 v[82:85], v[86:87], off offset:16
	global_load_dwordx2 v[100:101], v[86:87], off offset:32
	v_lshlrev_b64 v[51:52], 3, v[5:6]
	v_add_co_u32 v5, vcc_lo, s12, v51
	v_add_co_ci_u32_e32 v86, vcc_lo, s13, v52, vcc_lo
	v_add_co_u32 v51, vcc_lo, 0x1000, v5
	v_add_co_ci_u32_e32 v52, vcc_lo, 0, v86, vcc_lo
	;; [unrolled: 2-line block ×3, first 2 shown]
	s_clause 0x2
	global_load_dwordx4 v[86:89], v[51:52], off offset:624
	global_load_dwordx4 v[90:93], v[102:103], off offset:16
	global_load_dwordx2 v[51:52], v[102:103], off offset:32
	ds_read2_b32 v[4:5], v49 offset0:24 offset1:144
	ds_read2_b32 v[49:50], v50 offset0:72 offset1:192
	;; [unrolled: 1-line block ×4, first 2 shown]
	ds_read_b32 v120, v48 offset:1920
	ds_read_b32 v121, v0 offset:13920
	ds_read2_b32 v[108:109], v39 offset0:112 offset1:232
	ds_read2_b32 v[44:45], v45 offset0:72 offset1:192
	;; [unrolled: 1-line block ×8, first 2 shown]
	ds_read2_b32 v[116:117], v0 offset1:120
	ds_read2_b32 v[37:38], v37 offset0:88 offset1:208
	s_waitcnt vmcnt(14)
	v_mul_f32_e32 v0, v32, v56
	s_waitcnt lgkmcnt(15)
	v_mul_f32_e32 v41, v5, v56
	s_waitcnt vmcnt(12)
	v_mul_f32_e32 v3, v34, v60
	s_waitcnt lgkmcnt(14)
	v_mul_f32_e32 v46, v50, v60
	s_waitcnt lgkmcnt(13)
	;; [unrolled: 2-line block ×4, first 2 shown]
	v_mul_f32_e32 v118, v95, v121
	v_mul_f32_e32 v58, v11, v58
	;; [unrolled: 1-line block ×4, first 2 shown]
	s_waitcnt vmcnt(10) lgkmcnt(6)
	v_mul_f32_e32 v123, v66, v42
	v_mul_f32_e32 v66, v15, v66
	s_waitcnt vmcnt(8)
	v_mul_f32_e32 v125, v31, v72
	s_waitcnt vmcnt(7)
	v_mul_f32_e32 v126, v33, v77
	v_mul_f32_e32 v127, v70, v45
	;; [unrolled: 1-line block ×3, first 2 shown]
	s_waitcnt vmcnt(6) lgkmcnt(4)
	v_mul_f32_e32 v129, v99, v111
	v_mul_f32_e32 v75, v28, v75
	;; [unrolled: 1-line block ×6, first 2 shown]
	v_fma_f32 v3, v59, v50, -v3
	v_fmac_f32_e32 v46, v34, v59
	v_fmac_f32_e32 v60, v11, v57
	v_fma_f32 v11, v57, v104, -v58
	v_fma_f32 v0, v55, v5, -v0
	v_fmac_f32_e32 v41, v32, v55
	v_fmac_f32_e32 v56, v9, v53
	;; [unrolled: 1-line block ×3, first 2 shown]
	v_fma_f32 v5, v94, v121, -v95
	v_fma_f32 v9, v53, v102, -v54
	;; [unrolled: 1-line block ×5, first 2 shown]
	v_fmac_f32_e32 v127, v26, v69
	v_fmac_f32_e32 v128, v28, v74
	;; [unrolled: 1-line block ×3, first 2 shown]
	v_fma_f32 v26, v74, v48, -v75
	v_fma_f32 v28, v98, v111, -v99
	;; [unrolled: 1-line block ×3, first 2 shown]
	s_waitcnt vmcnt(5) lgkmcnt(3)
	v_mul_f32_e32 v34, v113, v81
	s_waitcnt vmcnt(4) lgkmcnt(2)
	v_mul_f32_e32 v42, v115, v85
	v_mul_f32_e32 v45, v79, v44
	v_mul_f32_e32 v48, v83, v47
	s_waitcnt vmcnt(3)
	v_mul_f32_e32 v49, v101, v110
	v_mul_f32_e32 v50, v27, v83
	v_mul_f32_e32 v53, v29, v101
	v_mul_f32_e32 v54, v25, v79
	v_fmac_f32_e32 v72, v31, v71
	v_fmac_f32_e32 v77, v33, v76
	v_mul_f32_e32 v31, v22, v81
	v_mul_f32_e32 v33, v24, v85
	v_sub_f32_e32 v57, v41, v46
	v_add_f32_e32 v58, v60, v118
	v_sub_f32_e32 v59, v11, v5
	v_add_f32_e32 v69, v11, v5
	;; [unrolled: 2-line block ×3, first 2 shown]
	v_add_f32_e32 v74, v41, v46
	v_add_f32_e32 v41, v35, v41
	;; [unrolled: 1-line block ×4, first 2 shown]
	v_sub_f32_e32 v83, v26, v28
	v_add_f32_e32 v85, v26, v28
	v_add_f32_e32 v98, v109, v4
	;; [unrolled: 1-line block ×3, first 2 shown]
	v_fmac_f32_e32 v34, v22, v80
	v_fmac_f32_e32 v42, v24, v84
	;; [unrolled: 1-line block ×5, first 2 shown]
	v_fma_f32 v22, v82, v47, -v50
	v_fma_f32 v24, v100, v110, -v53
	;; [unrolled: 1-line block ×3, first 2 shown]
	s_waitcnt vmcnt(2) lgkmcnt(0)
	v_mul_f32_e32 v50, v87, v38
	s_waitcnt vmcnt(1)
	v_mul_f32_e32 v53, v91, v43
	s_waitcnt vmcnt(0)
	v_mul_f32_e32 v54, v52, v40
	v_mul_f32_e32 v78, v16, v91
	;; [unrolled: 1-line block ×3, first 2 shown]
	v_add_f32_e32 v71, v120, v0
	v_add_f32_e32 v81, v128, v129
	v_sub_f32_e32 v95, v128, v129
	v_add_f32_e32 v99, v72, v77
	v_sub_f32_e32 v101, v4, v32
	v_fma_f32 v31, v80, v113, -v31
	v_mul_f32_e32 v29, v23, v93
	v_mul_f32_e32 v47, v114, v93
	;; [unrolled: 1-line block ×3, first 2 shown]
	v_fma_f32 v9, -0.5, v69, v9
	v_add_f32_e32 v5, v11, v5
	v_fma_f32 v69, -0.5, v74, v35
	v_add_f32_e32 v11, v41, v46
	v_add_f32_e32 v35, v60, v118
	v_fma_f32 v46, -0.5, v76, v109
	v_fma_f32 v30, -0.5, v85, v30
	v_add_f32_e32 v32, v98, v32
	v_add_f32_e32 v26, v26, v28
	;; [unrolled: 1-line block ×3, first 2 shown]
	v_sub_f32_e32 v82, v48, v49
	v_add_f32_e32 v48, v45, v48
	v_fmac_f32_e32 v50, v14, v86
	v_fmac_f32_e32 v53, v16, v90
	v_fma_f32 v14, v90, v43, -v78
	v_fma_f32 v16, v51, v40, -v52
	v_add_f32_e32 v55, v0, v3
	v_sub_f32_e32 v0, v0, v3
	v_sub_f32_e32 v79, v72, v77
	v_add_f32_e32 v4, v20, v72
	v_add_f32_e32 v72, v127, v128
	v_fma_f32 v33, v84, v115, -v33
	v_mul_f32_e32 v27, v21, v89
	v_mul_f32_e32 v44, v112, v89
	v_fma_f32 v56, -0.5, v58, v56
	v_add_f32_e32 v58, v71, v3
	v_fma_f32 v60, -0.5, v81, v127
	v_fma_f32 v71, -0.5, v99, v20
	v_add_f32_e32 v81, v22, v24
	v_fma_f32 v89, v92, v114, -v29
	v_fmac_f32_e32 v47, v23, v92
	v_fmac_f32_e32 v54, v18, v51
	v_fma_f32 v18, v86, v38, -v80
	v_sub_f32_e32 v3, v11, v35
	v_add_f32_e32 v20, v11, v35
	v_fmamk_f32 v11, v95, 0xbf5db3d7, v30
	v_sub_f32_e32 v23, v32, v26
	v_add_f32_e32 v29, v32, v26
	v_add_f32_e32 v32, v48, v49
	;; [unrolled: 1-line block ×3, first 2 shown]
	v_fma_f32 v55, -0.5, v55, v120
	v_add_f32_e32 v28, v4, v77
	v_add_f32_e32 v41, v72, v129
	;; [unrolled: 1-line block ×6, first 2 shown]
	v_fma_f32 v27, v88, v112, -v27
	v_fmac_f32_e32 v44, v21, v88
	v_fmamk_f32 v40, v70, 0xbf5db3d7, v9
	v_fmac_f32_e32 v9, 0x3f5db3d7, v70
	v_sub_f32_e32 v4, v58, v5
	v_add_f32_e32 v21, v58, v5
	v_fmamk_f32 v5, v83, 0x3f5db3d7, v60
	v_fmac_f32_e32 v60, 0xbf5db3d7, v83
	v_fma_f32 v58, -0.5, v76, v45
	v_fma_f32 v25, -0.5, v81, v25
	v_add_f32_e32 v45, v53, v54
	v_sub_f32_e32 v70, v53, v54
	v_mul_f32_e32 v83, -0.5, v11
	v_fma_f32 v49, -0.5, v49, v18
	v_sub_f32_e32 v74, v34, v42
	v_sub_f32_e32 v77, v22, v24
	;; [unrolled: 1-line block ×3, first 2 shown]
	v_add_f32_e32 v34, v19, v34
	v_fmamk_f32 v38, v57, 0xbf5db3d7, v55
	v_fmamk_f32 v43, v59, 0x3f5db3d7, v56
	v_fmac_f32_e32 v55, 0x3f5db3d7, v57
	v_fmac_f32_e32 v56, 0xbf5db3d7, v59
	v_fmamk_f32 v51, v0, 0x3f5db3d7, v69
	v_fmac_f32_e32 v69, 0xbf5db3d7, v0
	v_fmamk_f32 v0, v79, 0xbf5db3d7, v46
	v_fmac_f32_e32 v46, 0x3f5db3d7, v79
	v_fmac_f32_e32 v30, 0x3f5db3d7, v95
	v_fma_f32 v57, -0.5, v72, v108
	v_add_f32_e32 v26, v84, v33
	v_add_f32_e32 v24, v85, v24
	v_fma_f32 v59, -0.5, v87, v19
	v_add_f32_e32 v33, v27, v89
	v_sub_f32_e32 v48, v14, v16
	v_add_f32_e32 v72, v117, v27
	v_add_f32_e32 v53, v50, v53
	v_mul_f32_e32 v79, 0.5, v9
	v_mul_f32_e32 v81, 0xbf5db3d7, v9
	v_mul_f32_e32 v85, 0xbf5db3d7, v11
	v_fmamk_f32 v9, v82, 0xbf5db3d7, v25
	v_fmac_f32_e32 v25, 0x3f5db3d7, v82
	v_fma_f32 v82, -0.5, v45, v50
	v_fmac_f32_e32 v83, 0x3f5db3d7, v5
	v_fmamk_f32 v50, v70, 0xbf5db3d7, v49
	v_add_f32_e32 v14, v18, v14
	v_add_f32_e32 v19, v34, v42
	v_sub_f32_e32 v42, v44, v47
	v_add_f32_e32 v76, v44, v47
	v_sub_f32_e32 v27, v27, v89
	v_mul_f32_e32 v80, 0xbf5db3d7, v40
	v_mul_f32_e32 v84, 0.5, v30
	v_mul_f32_e32 v86, 0xbf5db3d7, v30
	v_fmamk_f32 v87, v74, 0xbf5db3d7, v57
	v_fmamk_f32 v88, v77, 0x3f5db3d7, v58
	v_fmac_f32_e32 v57, 0x3f5db3d7, v74
	v_fmac_f32_e32 v58, 0xbf5db3d7, v77
	v_fmamk_f32 v74, v31, 0x3f5db3d7, v59
	v_fmac_f32_e32 v59, 0xbf5db3d7, v31
	v_fma_f32 v77, -0.5, v33, v117
	v_add_f32_e32 v11, v72, v89
	v_add_f32_e32 v89, v53, v54
	v_fmac_f32_e32 v85, -0.5, v5
	v_mul_f32_e32 v5, -0.5, v9
	v_mul_f32_e32 v54, 0.5, v25
	v_fmamk_f32 v90, v48, 0x3f5db3d7, v82
	v_sub_f32_e32 v31, v0, v83
	v_add_f32_e32 v45, v0, v83
	v_mul_f32_e32 v0, -0.5, v50
	v_mul_f32_e32 v78, -0.5, v40
	v_add_f32_e32 v14, v14, v16
	v_fmac_f32_e32 v49, 0x3f5db3d7, v70
	v_mul_f32_e32 v124, v97, v39
	v_mul_f32_e32 v97, v17, v97
	v_fmamk_f32 v52, v101, 0x3f5db3d7, v71
	v_fmac_f32_e32 v71, 0xbf5db3d7, v101
	v_add_f32_e32 v44, v8, v44
	v_fma_f32 v16, -0.5, v76, v8
	v_fmac_f32_e32 v79, 0x3f5db3d7, v56
	v_fmac_f32_e32 v80, -0.5, v43
	v_fmac_f32_e32 v84, 0x3f5db3d7, v60
	v_fmac_f32_e32 v86, 0.5, v60
	v_fmamk_f32 v72, v42, 0xbf5db3d7, v77
	v_fmac_f32_e32 v5, 0x3f5db3d7, v88
	v_fmac_f32_e32 v54, 0x3f5db3d7, v58
	;; [unrolled: 1-line block ×4, first 2 shown]
	v_mul_f32_e32 v60, 0xbf5db3d7, v25
	v_fmac_f32_e32 v82, 0xbf5db3d7, v48
	v_sub_f32_e32 v43, v11, v14
	v_add_f32_e32 v11, v11, v14
	v_mul_f32_e32 v14, 0.5, v49
	v_sub_f32_e32 v22, v28, v41
	v_add_f32_e32 v28, v28, v41
	v_sub_f32_e32 v35, v26, v24
	v_sub_f32_e32 v34, v19, v32
	v_add_f32_e32 v41, v26, v24
	v_add_f32_e32 v40, v19, v32
	;; [unrolled: 1-line block ×3, first 2 shown]
	v_fmamk_f32 v91, v27, 0x3f5db3d7, v16
	v_fmac_f32_e32 v16, 0xbf5db3d7, v27
	v_sub_f32_e32 v19, v55, v79
	v_sub_f32_e32 v8, v51, v80
	v_add_f32_e32 v27, v55, v79
	v_add_f32_e32 v24, v51, v80
	v_sub_f32_e32 v33, v46, v84
	v_sub_f32_e32 v32, v71, v86
	v_add_f32_e32 v47, v46, v84
	v_add_f32_e32 v46, v71, v86
	v_mul_f32_e32 v71, 0xbf5db3d7, v49
	v_sub_f32_e32 v49, v87, v5
	v_sub_f32_e32 v51, v57, v54
	v_add_f32_e32 v53, v87, v5
	v_add_f32_e32 v55, v57, v54
	v_sub_f32_e32 v57, v72, v0
	v_add_f32_e32 v70, v72, v0
	v_mul_f32_e32 v0, v13, v62
	v_fma_f32 v5, v96, v39, -v97
	v_fmac_f32_e32 v77, 0x3f5db3d7, v42
	v_fmac_f32_e32 v60, 0.5, v58
	v_fmac_f32_e32 v14, 0x3f5db3d7, v82
	v_fmac_f32_e32 v81, 0.5, v56
	v_mul_f32_e32 v56, 0xbf5db3d7, v9
	v_sub_f32_e32 v9, v38, v78
	v_add_f32_e32 v25, v38, v78
	v_mul_f32_e32 v38, 0xbf5db3d7, v50
	v_fmac_f32_e32 v123, v15, v65
	v_fmac_f32_e32 v124, v17, v96
	v_fma_f32 v0, v61, v37, -v0
	v_add_f32_e32 v15, v66, v5
	v_mul_f32_e32 v119, v10, v64
	v_mul_f32_e32 v122, v12, v68
	v_fmac_f32_e32 v71, 0.5, v82
	v_sub_f32_e32 v50, v59, v60
	v_add_f32_e32 v54, v59, v60
	v_sub_f32_e32 v59, v77, v14
	v_add_f32_e32 v72, v77, v14
	v_mul_f32_e32 v14, v62, v37
	v_fmac_f32_e32 v56, -0.5, v88
	v_fmac_f32_e32 v38, -0.5, v90
	v_fma_f32 v37, -0.5, v15, v0
	v_sub_f32_e32 v15, v123, v124
	v_fma_f32 v36, v63, v103, -v119
	v_fma_f32 v94, v67, v105, -v122
	v_sub_f32_e32 v58, v16, v71
	v_add_f32_e32 v71, v16, v71
	v_mul_f32_e32 v16, v103, v64
	v_mul_f32_e32 v17, v105, v68
	v_fmac_f32_e32 v14, v13, v61
	v_add_f32_e32 v13, v123, v124
	v_sub_f32_e32 v18, v69, v81
	v_add_f32_e32 v26, v69, v81
	v_sub_f32_e32 v30, v52, v85
	;; [unrolled: 2-line block ×4, first 2 shown]
	v_add_f32_e32 v69, v91, v38
	v_fmamk_f32 v38, v15, 0xbf5db3d7, v37
	v_fmac_f32_e32 v37, 0x3f5db3d7, v15
	v_add_f32_e32 v75, v36, v94
	v_fmac_f32_e32 v16, v10, v63
	v_fmac_f32_e32 v17, v12, v67
	v_fma_f32 v12, -0.5, v13, v14
	v_sub_f32_e32 v13, v66, v5
	v_mul_f32_e32 v63, 0.5, v37
	v_mul_f32_e32 v68, 0xbf5db3d7, v37
	v_mul_hi_u32 v37, 0x1b4e81b5, v73
	v_fma_f32 v62, -0.5, v75, v116
	v_sub_f32_e32 v39, v16, v17
	v_fmamk_f32 v60, v13, 0x3f5db3d7, v12
	v_fmac_f32_e32 v12, 0xbf5db3d7, v13
	v_add_f32_e32 v13, v16, v17
	v_mul_f32_e32 v61, -0.5, v38
	v_fmamk_f32 v64, v39, 0xbf5db3d7, v62
	v_fmac_f32_e32 v62, 0x3f5db3d7, v39
	v_add_f32_e32 v39, v116, v36
	v_add_f32_e32 v0, v0, v66
	v_fma_f32 v65, -0.5, v13, v7
	v_sub_f32_e32 v36, v36, v94
	v_add_f32_e32 v7, v7, v16
	v_add_f32_e32 v14, v14, v123
	v_lshrrev_b32_e32 v37, 6, v37
	v_fmac_f32_e32 v61, 0x3f5db3d7, v60
	v_add_f32_e32 v66, v39, v94
	v_add_f32_e32 v0, v0, v5
	v_mul_f32_e32 v67, 0xbf5db3d7, v38
	v_lshlrev_b64 v[38:39], 3, v[106:107]
	v_fmamk_f32 v5, v36, 0x3f5db3d7, v65
	v_fmac_f32_e32 v65, 0xbf5db3d7, v36
	v_add_f32_e32 v7, v7, v17
	v_add_f32_e32 v36, v14, v124
	v_mul_u32_u24_e32 v74, 0x258, v37
	v_sub_f32_e32 v13, v64, v61
	v_sub_f32_e32 v17, v66, v0
	v_add_f32_e32 v37, v64, v61
	v_add_f32_e32 v61, v66, v0
	v_lshlrev_b64 v[0:1], 3, v[1:2]
	v_fmac_f32_e32 v67, -0.5, v60
	v_sub_f32_e32 v16, v7, v36
	v_add_f32_e32 v60, v7, v36
	v_sub_nc_u32_e32 v7, v73, v74
	v_add_co_u32 v2, vcc_lo, s10, v38
	v_add_co_ci_u32_e32 v36, vcc_lo, s11, v39, vcc_lo
	v_lshlrev_b32_e32 v7, 3, v7
	v_add_co_u32 v2, vcc_lo, v2, v0
	v_add_nc_u32_e32 v66, 0x78, v73
	v_add_co_ci_u32_e32 v74, vcc_lo, v36, v1, vcc_lo
	v_add_co_u32 v0, vcc_lo, v2, v7
	v_mul_hi_u32 v7, 0x1b4e81b5, v66
	v_fmac_f32_e32 v63, 0x3f5db3d7, v12
	v_fmac_f32_e32 v68, 0.5, v12
	v_sub_f32_e32 v12, v5, v67
	v_add_f32_e32 v36, v5, v67
	v_add_co_ci_u32_e32 v1, vcc_lo, 0, v74, vcc_lo
	v_sub_f32_e32 v15, v62, v63
	v_lshrrev_b32_e32 v5, 6, v7
	v_add_f32_e32 v39, v62, v63
	global_store_dwordx2 v[0:1], v[60:61], off
	v_add_co_u32 v60, vcc_lo, 0x1000, v0
	v_mul_u32_u24_e32 v7, 0x258, v5
	v_add_co_ci_u32_e32 v61, vcc_lo, 0, v1, vcc_lo
	v_add_co_u32 v62, vcc_lo, 0x2000, v0
	v_sub_nc_u32_e32 v7, v66, v7
	v_add_co_ci_u32_e32 v63, vcc_lo, 0, v1, vcc_lo
	v_add_co_u32 v64, vcc_lo, 0x3800, v0
	v_sub_f32_e32 v14, v65, v68
	v_add_f32_e32 v38, v65, v68
	v_add_co_ci_u32_e32 v65, vcc_lo, 0, v1, vcc_lo
	v_mad_u32_u24 v5, 0xe10, v5, v7
	v_add_co_u32 v66, vcc_lo, 0x4800, v0
	v_add_co_ci_u32_e32 v67, vcc_lo, 0, v1, vcc_lo
	global_store_dwordx2 v[60:61], v[38:39], off offset:704
	global_store_dwordx2 v[62:63], v[36:37], off offset:1408
	;; [unrolled: 1-line block ×4, first 2 shown]
	v_lshlrev_b64 v[14:15], 3, v[5:6]
	v_add_co_u32 v0, vcc_lo, 0x5800, v0
	v_add_co_ci_u32_e32 v1, vcc_lo, 0, v1, vcc_lo
	v_add_nc_u32_e32 v7, 0xf0, v73
	v_add_co_u32 v14, vcc_lo, v2, v14
	v_add_f32_e32 v10, v76, v89
	v_add_co_ci_u32_e32 v15, vcc_lo, v74, v15, vcc_lo
	v_add_nc_u32_e32 v16, 0x258, v5
	v_mov_b32_e32 v17, v6
	global_store_dwordx2 v[0:1], v[12:13], off offset:1472
	global_store_dwordx2 v[14:15], v[10:11], off
	v_mul_hi_u32 v13, 0x1b4e81b5, v7
	v_add_nc_u32_e32 v36, 0x4b0, v5
	v_mov_b32_e32 v37, v6
	v_lshlrev_b64 v[16:17], 3, v[16:17]
	v_add_nc_u32_e32 v12, 0x708, v5
	v_add_nc_u32_e32 v14, 0x960, v5
	v_mov_b32_e32 v15, v6
	v_lshlrev_b64 v[0:1], 3, v[36:37]
	v_add_nc_u32_e32 v5, 0xbb8, v5
	v_add_co_u32 v10, vcc_lo, v2, v16
	v_lshrrev_b32_e32 v16, 6, v13
	v_add_co_ci_u32_e32 v11, vcc_lo, v74, v17, vcc_lo
	v_mov_b32_e32 v13, v6
	v_add_co_u32 v0, vcc_lo, v2, v0
	v_mul_u32_u24_e32 v17, 0x258, v16
	v_add_co_ci_u32_e32 v1, vcc_lo, v74, v1, vcc_lo
	global_store_dwordx2 v[10:11], v[71:72], off
	v_lshlrev_b64 v[10:11], 3, v[12:13]
	v_sub_nc_u32_e32 v7, v7, v17
	global_store_dwordx2 v[0:1], v[69:70], off
	v_lshlrev_b64 v[0:1], 3, v[14:15]
	v_lshlrev_b64 v[12:13], 3, v[5:6]
	v_sub_f32_e32 v42, v76, v89
	v_mad_u32_u24 v5, 0xe10, v16, v7
	v_add_co_u32 v10, vcc_lo, v2, v10
	v_add_co_ci_u32_e32 v11, vcc_lo, v74, v11, vcc_lo
	v_add_co_u32 v0, vcc_lo, v2, v0
	v_lshlrev_b64 v[14:15], 3, v[5:6]
	v_add_co_ci_u32_e32 v1, vcc_lo, v74, v1, vcc_lo
	v_add_co_u32 v12, vcc_lo, v2, v12
	v_add_co_ci_u32_e32 v13, vcc_lo, v74, v13, vcc_lo
	v_add_nc_u32_e32 v16, 0x258, v5
	v_mov_b32_e32 v17, v6
	v_add_nc_u32_e32 v7, 0x168, v73
	v_add_co_u32 v14, vcc_lo, v2, v14
	v_add_co_ci_u32_e32 v15, vcc_lo, v74, v15, vcc_lo
	global_store_dwordx2 v[10:11], v[42:43], off
	global_store_dwordx2 v[0:1], v[58:59], off
	;; [unrolled: 1-line block ×4, first 2 shown]
	v_lshlrev_b64 v[0:1], 3, v[16:17]
	v_mul_hi_u32 v16, 0x1b4e81b5, v7
	v_add_nc_u32_e32 v10, 0x4b0, v5
	v_mov_b32_e32 v11, v6
	v_add_nc_u32_e32 v12, 0x708, v5
	v_mov_b32_e32 v13, v6
	;; [unrolled: 2-line block ×3, first 2 shown]
	v_lshlrev_b64 v[10:11], 3, v[10:11]
	v_lshrrev_b32_e32 v36, 6, v16
	v_add_co_u32 v0, vcc_lo, v2, v0
	v_lshlrev_b64 v[12:13], 3, v[12:13]
	v_add_co_ci_u32_e32 v1, vcc_lo, v74, v1, vcc_lo
	v_mul_u32_u24_e32 v16, 0x258, v36
	v_add_co_u32 v10, vcc_lo, v2, v10
	v_lshlrev_b64 v[14:15], 3, v[14:15]
	v_add_nc_u32_e32 v5, 0xbb8, v5
	v_sub_nc_u32_e32 v7, v7, v16
	v_add_co_ci_u32_e32 v11, vcc_lo, v74, v11, vcc_lo
	v_add_co_u32 v12, vcc_lo, v2, v12
	v_add_co_ci_u32_e32 v13, vcc_lo, v74, v13, vcc_lo
	v_lshlrev_b64 v[16:17], 3, v[5:6]
	v_mad_u32_u24 v5, 0xe10, v36, v7
	v_add_co_u32 v14, vcc_lo, v2, v14
	v_add_co_ci_u32_e32 v15, vcc_lo, v74, v15, vcc_lo
	global_store_dwordx2 v[0:1], v[54:55], off
	global_store_dwordx2 v[10:11], v[52:53], off
	;; [unrolled: 1-line block ×4, first 2 shown]
	v_add_nc_u32_e32 v10, 0x258, v5
	v_mov_b32_e32 v11, v6
	v_add_nc_u32_e32 v7, 0x1e0, v73
	v_lshlrev_b64 v[0:1], 3, v[5:6]
	v_add_co_u32 v12, vcc_lo, v2, v16
	v_lshlrev_b64 v[10:11], 3, v[10:11]
	v_mul_hi_u32 v34, 0x1b4e81b5, v7
	v_add_co_ci_u32_e32 v13, vcc_lo, v74, v17, vcc_lo
	v_add_co_u32 v0, vcc_lo, v2, v0
	v_add_nc_u32_e32 v14, 0x4b0, v5
	v_mov_b32_e32 v15, v6
	v_add_co_ci_u32_e32 v1, vcc_lo, v74, v1, vcc_lo
	v_add_co_u32 v10, vcc_lo, v2, v10
	v_add_nc_u32_e32 v16, 0x708, v5
	v_mov_b32_e32 v17, v6
	v_add_co_ci_u32_e32 v11, vcc_lo, v74, v11, vcc_lo
	global_store_dwordx2 v[12:13], v[48:49], off
	v_lshlrev_b64 v[12:13], 3, v[14:15]
	v_lshrrev_b32_e32 v14, 6, v34
	global_store_dwordx2 v[0:1], v[28:29], off
	global_store_dwordx2 v[10:11], v[46:47], off
	v_lshlrev_b64 v[0:1], 3, v[16:17]
	v_add_co_u32 v10, vcc_lo, v2, v12
	v_mul_u32_u24_e32 v15, 0x258, v14
	v_add_co_ci_u32_e32 v11, vcc_lo, v74, v13, vcc_lo
	v_add_nc_u32_e32 v12, 0x960, v5
	v_mov_b32_e32 v13, v6
	v_add_co_u32 v0, vcc_lo, v2, v0
	v_add_nc_u32_e32 v5, 0xbb8, v5
	v_sub_nc_u32_e32 v7, v7, v15
	v_add_co_ci_u32_e32 v1, vcc_lo, v74, v1, vcc_lo
	v_lshlrev_b64 v[12:13], 3, v[12:13]
	global_store_dwordx2 v[10:11], v[44:45], off
	global_store_dwordx2 v[0:1], v[22:23], off
	v_lshlrev_b64 v[0:1], 3, v[5:6]
	v_mad_u32_u24 v5, 0xe10, v14, v7
	v_mov_b32_e32 v15, v6
	v_add_co_u32 v10, vcc_lo, v2, v12
	v_add_co_ci_u32_e32 v11, vcc_lo, v74, v13, vcc_lo
	v_lshlrev_b64 v[12:13], 3, v[5:6]
	v_add_co_u32 v0, vcc_lo, v2, v0
	v_add_co_ci_u32_e32 v1, vcc_lo, v74, v1, vcc_lo
	v_add_nc_u32_e32 v14, 0x258, v5
	v_add_co_u32 v12, vcc_lo, v2, v12
	v_add_co_ci_u32_e32 v13, vcc_lo, v74, v13, vcc_lo
	v_add_nc_u32_e32 v16, 0x4b0, v5
	global_store_dwordx2 v[10:11], v[32:33], off
	global_store_dwordx2 v[0:1], v[30:31], off
	v_lshlrev_b64 v[0:1], 3, v[14:15]
	global_store_dwordx2 v[12:13], v[20:21], off
	v_add_nc_u32_e32 v12, 0x708, v5
	v_mov_b32_e32 v13, v6
	v_lshlrev_b64 v[10:11], 3, v[16:17]
	v_add_nc_u32_e32 v14, 0x960, v5
	v_add_co_u32 v0, vcc_lo, v2, v0
	v_lshlrev_b64 v[12:13], 3, v[12:13]
	v_add_nc_u32_e32 v5, 0xbb8, v5
	v_add_co_ci_u32_e32 v1, vcc_lo, v74, v1, vcc_lo
	v_add_co_u32 v10, vcc_lo, v2, v10
	v_lshlrev_b64 v[14:15], 3, v[14:15]
	v_add_co_ci_u32_e32 v11, vcc_lo, v74, v11, vcc_lo
	v_add_co_u32 v12, vcc_lo, v2, v12
	v_lshlrev_b64 v[5:6], 3, v[5:6]
	v_add_co_ci_u32_e32 v13, vcc_lo, v74, v13, vcc_lo
	v_add_co_u32 v14, vcc_lo, v2, v14
	v_add_co_ci_u32_e32 v15, vcc_lo, v74, v15, vcc_lo
	v_add_co_u32 v5, vcc_lo, v2, v5
	v_add_co_ci_u32_e32 v6, vcc_lo, v74, v6, vcc_lo
	global_store_dwordx2 v[0:1], v[26:27], off
	global_store_dwordx2 v[10:11], v[24:25], off
	;; [unrolled: 1-line block ×5, first 2 shown]
.LBB0_15:
	s_endpgm
	.section	.rodata,"a",@progbits
	.p2align	6, 0x0
	.amdhsa_kernel fft_rtc_back_len3600_factors_10_10_6_6_wgs_120_tpt_120_halfLds_sp_op_CI_CI_unitstride_sbrr_dirReg
		.amdhsa_group_segment_fixed_size 0
		.amdhsa_private_segment_fixed_size 0
		.amdhsa_kernarg_size 104
		.amdhsa_user_sgpr_count 6
		.amdhsa_user_sgpr_private_segment_buffer 1
		.amdhsa_user_sgpr_dispatch_ptr 0
		.amdhsa_user_sgpr_queue_ptr 0
		.amdhsa_user_sgpr_kernarg_segment_ptr 1
		.amdhsa_user_sgpr_dispatch_id 0
		.amdhsa_user_sgpr_flat_scratch_init 0
		.amdhsa_user_sgpr_private_segment_size 0
		.amdhsa_wavefront_size32 1
		.amdhsa_uses_dynamic_stack 0
		.amdhsa_system_sgpr_private_segment_wavefront_offset 0
		.amdhsa_system_sgpr_workgroup_id_x 1
		.amdhsa_system_sgpr_workgroup_id_y 0
		.amdhsa_system_sgpr_workgroup_id_z 0
		.amdhsa_system_sgpr_workgroup_info 0
		.amdhsa_system_vgpr_workitem_id 0
		.amdhsa_next_free_vgpr 144
		.amdhsa_next_free_sgpr 27
		.amdhsa_reserve_vcc 1
		.amdhsa_reserve_flat_scratch 0
		.amdhsa_float_round_mode_32 0
		.amdhsa_float_round_mode_16_64 0
		.amdhsa_float_denorm_mode_32 3
		.amdhsa_float_denorm_mode_16_64 3
		.amdhsa_dx10_clamp 1
		.amdhsa_ieee_mode 1
		.amdhsa_fp16_overflow 0
		.amdhsa_workgroup_processor_mode 1
		.amdhsa_memory_ordered 1
		.amdhsa_forward_progress 0
		.amdhsa_shared_vgpr_count 0
		.amdhsa_exception_fp_ieee_invalid_op 0
		.amdhsa_exception_fp_denorm_src 0
		.amdhsa_exception_fp_ieee_div_zero 0
		.amdhsa_exception_fp_ieee_overflow 0
		.amdhsa_exception_fp_ieee_underflow 0
		.amdhsa_exception_fp_ieee_inexact 0
		.amdhsa_exception_int_div_zero 0
	.end_amdhsa_kernel
	.text
.Lfunc_end0:
	.size	fft_rtc_back_len3600_factors_10_10_6_6_wgs_120_tpt_120_halfLds_sp_op_CI_CI_unitstride_sbrr_dirReg, .Lfunc_end0-fft_rtc_back_len3600_factors_10_10_6_6_wgs_120_tpt_120_halfLds_sp_op_CI_CI_unitstride_sbrr_dirReg
                                        ; -- End function
	.section	.AMDGPU.csdata,"",@progbits
; Kernel info:
; codeLenInByte = 15992
; NumSgprs: 29
; NumVgprs: 144
; ScratchSize: 0
; MemoryBound: 0
; FloatMode: 240
; IeeeMode: 1
; LDSByteSize: 0 bytes/workgroup (compile time only)
; SGPRBlocks: 3
; VGPRBlocks: 17
; NumSGPRsForWavesPerEU: 29
; NumVGPRsForWavesPerEU: 144
; Occupancy: 7
; WaveLimiterHint : 1
; COMPUTE_PGM_RSRC2:SCRATCH_EN: 0
; COMPUTE_PGM_RSRC2:USER_SGPR: 6
; COMPUTE_PGM_RSRC2:TRAP_HANDLER: 0
; COMPUTE_PGM_RSRC2:TGID_X_EN: 1
; COMPUTE_PGM_RSRC2:TGID_Y_EN: 0
; COMPUTE_PGM_RSRC2:TGID_Z_EN: 0
; COMPUTE_PGM_RSRC2:TIDIG_COMP_CNT: 0
	.text
	.p2alignl 6, 3214868480
	.fill 48, 4, 3214868480
	.type	__hip_cuid_ce23e1ba607975b,@object ; @__hip_cuid_ce23e1ba607975b
	.section	.bss,"aw",@nobits
	.globl	__hip_cuid_ce23e1ba607975b
__hip_cuid_ce23e1ba607975b:
	.byte	0                               ; 0x0
	.size	__hip_cuid_ce23e1ba607975b, 1

	.ident	"AMD clang version 19.0.0git (https://github.com/RadeonOpenCompute/llvm-project roc-6.4.0 25133 c7fe45cf4b819c5991fe208aaa96edf142730f1d)"
	.section	".note.GNU-stack","",@progbits
	.addrsig
	.addrsig_sym __hip_cuid_ce23e1ba607975b
	.amdgpu_metadata
---
amdhsa.kernels:
  - .args:
      - .actual_access:  read_only
        .address_space:  global
        .offset:         0
        .size:           8
        .value_kind:     global_buffer
      - .offset:         8
        .size:           8
        .value_kind:     by_value
      - .actual_access:  read_only
        .address_space:  global
        .offset:         16
        .size:           8
        .value_kind:     global_buffer
      - .actual_access:  read_only
        .address_space:  global
        .offset:         24
        .size:           8
        .value_kind:     global_buffer
      - .actual_access:  read_only
        .address_space:  global
        .offset:         32
        .size:           8
        .value_kind:     global_buffer
      - .offset:         40
        .size:           8
        .value_kind:     by_value
      - .actual_access:  read_only
        .address_space:  global
        .offset:         48
        .size:           8
        .value_kind:     global_buffer
      - .actual_access:  read_only
        .address_space:  global
        .offset:         56
        .size:           8
        .value_kind:     global_buffer
      - .offset:         64
        .size:           4
        .value_kind:     by_value
      - .actual_access:  read_only
        .address_space:  global
        .offset:         72
        .size:           8
        .value_kind:     global_buffer
      - .actual_access:  read_only
        .address_space:  global
        .offset:         80
        .size:           8
        .value_kind:     global_buffer
      - .actual_access:  read_only
        .address_space:  global
        .offset:         88
        .size:           8
        .value_kind:     global_buffer
      - .actual_access:  write_only
        .address_space:  global
        .offset:         96
        .size:           8
        .value_kind:     global_buffer
    .group_segment_fixed_size: 0
    .kernarg_segment_align: 8
    .kernarg_segment_size: 104
    .language:       OpenCL C
    .language_version:
      - 2
      - 0
    .max_flat_workgroup_size: 120
    .name:           fft_rtc_back_len3600_factors_10_10_6_6_wgs_120_tpt_120_halfLds_sp_op_CI_CI_unitstride_sbrr_dirReg
    .private_segment_fixed_size: 0
    .sgpr_count:     29
    .sgpr_spill_count: 0
    .symbol:         fft_rtc_back_len3600_factors_10_10_6_6_wgs_120_tpt_120_halfLds_sp_op_CI_CI_unitstride_sbrr_dirReg.kd
    .uniform_work_group_size: 1
    .uses_dynamic_stack: false
    .vgpr_count:     144
    .vgpr_spill_count: 0
    .wavefront_size: 32
    .workgroup_processor_mode: 1
amdhsa.target:   amdgcn-amd-amdhsa--gfx1030
amdhsa.version:
  - 1
  - 2
...

	.end_amdgpu_metadata
